;; amdgpu-corpus repo=zjin-lcf/HeCBench kind=compiled arch=gfx90a opt=O3
	.text
	.amdgcn_target "amdgcn-amd-amdhsa--gfx90a"
	.amdhsa_code_object_version 6
	.protected	_Z21k_forward_rush_larsenPdddPKdi ; -- Begin function _Z21k_forward_rush_larsenPdddPKdi
	.globl	_Z21k_forward_rush_larsenPdddPKdi
	.p2align	8
	.type	_Z21k_forward_rush_larsenPdddPKdi,@function
_Z21k_forward_rush_larsenPdddPKdi:      ; @_Z21k_forward_rush_larsenPdddPKdi
; %bb.0:
	s_mov_b64 s[58:59], s[2:3]
	s_mov_b64 s[56:57], s[0:1]
	s_load_dword s0, s[4:5], 0x34
	s_load_dword s2, s[4:5], 0x20
	s_add_u32 s56, s56, s7
	s_addc_u32 s57, s57, 0
	s_waitcnt lgkmcnt(0)
	s_and_b32 s0, s0, 0xffff
	s_mul_i32 s6, s6, s0
	v_add_u32_e32 v0, s6, v0
	v_cmp_gt_i32_e32 vcc, s2, v0
	s_and_saveexec_b64 s[0:1], vcc
	s_cbranch_execz .LBB0_86
; %bb.1:
	s_load_dwordx8 s[8:15], s[4:5], 0x0
	v_ashrrev_i32_e32 v1, 31, v0
	s_add_i32 s0, s2, s2
	v_lshlrev_b64 v[6:7], 3, v[0:1]
	v_add_u32_e32 v4, s0, v0
	s_waitcnt lgkmcnt(0)
	v_mov_b32_e32 v1, s9
	v_add_co_u32_e32 v2, vcc, s8, v6
	v_ashrrev_i32_e32 v5, 31, v4
	v_addc_co_u32_e32 v3, vcc, v1, v7, vcc
	v_lshlrev_b64 v[8:9], 3, v[4:5]
	v_add_u32_e32 v4, s2, v4
	v_add_co_u32_e32 v82, vcc, s8, v8
	v_ashrrev_i32_e32 v5, 31, v4
	v_addc_co_u32_e32 v83, vcc, v1, v9, vcc
	v_lshlrev_b64 v[10:11], 3, v[4:5]
	v_mov_b32_e32 v5, s9
	v_add_co_u32_e32 v52, vcc, s8, v10
	v_add_u32_e32 v4, s2, v4
	v_addc_co_u32_e32 v53, vcc, v5, v11, vcc
	v_ashrrev_i32_e32 v5, 31, v4
	v_lshlrev_b64 v[16:17], 3, v[4:5]
	v_mov_b32_e32 v5, s9
	v_add_co_u32_e32 v0, vcc, s8, v16
	v_add_u32_e32 v4, s2, v4
	v_addc_co_u32_e32 v1, vcc, v5, v17, vcc
	v_ashrrev_i32_e32 v5, 31, v4
	global_load_dwordx2 v[30:31], v[2:3], off
	s_nop 0
	buffer_store_dword v0, off, s[56:59], 0 offset:384 ; 4-byte Folded Spill
	s_nop 0
	buffer_store_dword v1, off, s[56:59], 0 offset:388 ; 4-byte Folded Spill
	v_lshlrev_b64 v[22:23], 3, v[4:5]
	v_mov_b32_e32 v5, s9
	v_add_co_u32_e32 v0, vcc, s8, v22
	v_add_u32_e32 v4, s2, v4
	v_addc_co_u32_e32 v1, vcc, v5, v23, vcc
	v_ashrrev_i32_e32 v5, 31, v4
	buffer_store_dword v0, off, s[56:59], 0 offset:392 ; 4-byte Folded Spill
	s_nop 0
	buffer_store_dword v1, off, s[56:59], 0 offset:396 ; 4-byte Folded Spill
	v_lshlrev_b64 v[26:27], 3, v[4:5]
	v_mov_b32_e32 v5, s9
	v_add_co_u32_e32 v0, vcc, s8, v26
	v_add_u32_e32 v4, s2, v4
	v_addc_co_u32_e32 v1, vcc, v5, v27, vcc
	v_ashrrev_i32_e32 v5, 31, v4
	;; [unrolled: 9-line block ×6, first 2 shown]
	buffer_store_dword v0, off, s[56:59], 0 offset:448 ; 4-byte Folded Spill
	s_nop 0
	buffer_store_dword v1, off, s[56:59], 0 offset:452 ; 4-byte Folded Spill
	v_lshlrev_b64 v[48:49], 3, v[4:5]
	s_lshl_b32 s3, s2, 1
	v_mov_b32_e32 v5, s9
	v_add_co_u32_e32 v0, vcc, s8, v48
	v_add_u32_e32 v4, s3, v4
	v_addc_co_u32_e32 v1, vcc, v5, v49, vcc
	v_ashrrev_i32_e32 v5, 31, v4
	v_lshlrev_b64 v[60:61], 3, v[4:5]
	v_mov_b32_e32 v5, s9
	v_add_co_u32_e32 v14, vcc, s8, v60
	v_add_u32_e32 v4, s3, v4
	v_addc_co_u32_e32 v15, vcc, v5, v61, vcc
	v_ashrrev_i32_e32 v5, 31, v4
	v_lshlrev_b64 v[58:59], 3, v[4:5]
	v_mov_b32_e32 v5, s9
	v_add_co_u32_e32 v50, vcc, s8, v58
	v_addc_co_u32_e32 v51, vcc, v5, v59, vcc
	v_mad_u64_u32 v[4:5], s[0:1], s2, -3, v[4:5]
	v_ashrrev_i32_e32 v5, 31, v4
	buffer_store_dword v0, off, s[56:59], 0 offset:456 ; 4-byte Folded Spill
	s_nop 0
	buffer_store_dword v1, off, s[56:59], 0 offset:460 ; 4-byte Folded Spill
	v_lshlrev_b64 v[54:55], 3, v[4:5]
	v_mov_b32_e32 v5, s9
	v_add_co_u32_e32 v0, vcc, s8, v54
	v_add_u32_e32 v4, s3, v4
	v_addc_co_u32_e32 v1, vcc, v5, v55, vcc
	v_ashrrev_i32_e32 v5, 31, v4
	v_lshlrev_b64 v[62:63], 3, v[4:5]
	v_mov_b32_e32 v5, s9
	v_add_co_u32_e32 v46, vcc, s8, v62
	v_add_u32_e32 v4, s3, v4
	v_addc_co_u32_e32 v47, vcc, v5, v63, vcc
	v_ashrrev_i32_e32 v5, 31, v4
	;; [unrolled: 6-line block ×3, first 2 shown]
	v_lshlrev_b64 v[68:69], 3, v[4:5]
	v_mov_b32_e32 v5, s9
	v_add_co_u32_e32 v12, vcc, s8, v68
	v_addc_co_u32_e32 v13, vcc, v5, v69, vcc
	buffer_store_dword v12, off, s[56:59], 0 offset:128 ; 4-byte Folded Spill
	s_nop 0
	buffer_store_dword v13, off, s[56:59], 0 offset:132 ; 4-byte Folded Spill
	v_add_u32_e32 v72, s2, v4
	v_ashrrev_i32_e32 v73, 31, v72
	v_lshlrev_b64 v[70:71], 3, v[72:73]
	v_mov_b32_e32 v4, s9
	v_add_co_u32_e32 v28, vcc, s8, v70
	v_addc_co_u32_e32 v29, vcc, v4, v71, vcc
	s_mov_b32 s0, 0
	s_mov_b32 s1, 0x401c0000
	;; [unrolled: 1-line block ×28, first 2 shown]
	s_ashr_i32 s3, s2, 31
	global_load_dwordx2 v[4:5], v[12:13], off
	v_mov_b32_e32 v13, s15
	v_add_co_u32_e32 v12, vcc, s14, v6
	v_addc_co_u32_e32 v13, vcc, v13, v7, vcc
	v_mov_b32_e32 v6, s15
	v_add_co_u32_e32 v8, vcc, s14, v8
	v_addc_co_u32_e32 v9, vcc, v6, v9, vcc
	buffer_store_dword v8, off, s[56:59], 0 offset:8 ; 4-byte Folded Spill
	s_nop 0
	buffer_store_dword v9, off, s[56:59], 0 offset:12 ; 4-byte Folded Spill
	buffer_store_dword v28, off, s[56:59], 0 offset:120 ; 4-byte Folded Spill
	s_nop 0
	buffer_store_dword v29, off, s[56:59], 0 offset:124 ; 4-byte Folded Spill
	v_add_co_u32_e32 v18, vcc, s14, v10
	v_addc_co_u32_e32 v19, vcc, v6, v11, vcc
	v_add_co_u32_e32 v20, vcc, s14, v16
	v_addc_co_u32_e32 v21, vcc, v6, v17, vcc
	;; [unrolled: 2-line block ×16, first 2 shown]
	v_add_u32_e32 v6, s2, v72
	v_ashrrev_i32_e32 v7, 31, v6
	v_lshlrev_b64 v[8:9], 3, v[6:7]
	v_mov_b32_e32 v7, s15
	v_add_co_u32_e32 v72, vcc, s14, v8
	v_add_u32_e32 v6, s2, v6
	v_addc_co_u32_e32 v73, vcc, v7, v9, vcc
	v_ashrrev_i32_e32 v7, 31, v6
	v_lshlrev_b64 v[8:9], 3, v[6:7]
	v_mov_b32_e32 v7, s15
	v_add_co_u32_e32 v74, vcc, s14, v8
	v_add_u32_e32 v6, s2, v6
	v_addc_co_u32_e32 v75, vcc, v7, v9, vcc
	;; [unrolled: 6-line block ×5, first 2 shown]
	v_ashrrev_i32_e32 v7, 31, v6
	v_lshlrev_b64 v[8:9], 3, v[6:7]
	v_mov_b32_e32 v7, s15
	v_add_co_u32_e32 v90, vcc, s14, v8
	v_addc_co_u32_e32 v91, vcc, v7, v9, vcc
	global_load_dwordx2 v[8:9], v[28:29], off
	s_waitcnt vmcnt(0)
	buffer_store_dword v8, off, s[56:59], 0 ; 4-byte Folded Spill
	s_nop 0
	buffer_store_dword v9, off, s[56:59], 0 offset:4 ; 4-byte Folded Spill
	buffer_store_dword v34, off, s[56:59], 0 offset:136 ; 4-byte Folded Spill
	s_nop 0
	buffer_store_dword v35, off, s[56:59], 0 offset:140 ; 4-byte Folded Spill
	v_add_u32_e32 v6, s2, v6
	v_ashrrev_i32_e32 v7, 31, v6
	v_lshlrev_b64 v[26:27], 3, v[6:7]
	v_mov_b32_e32 v7, s15
	v_add_u32_e32 v94, s2, v6
	v_ashrrev_i32_e32 v95, 31, v94
	v_lshlrev_b64 v[98:99], 3, v[94:95]
	v_add_u32_e32 v106, s2, v94
	v_ashrrev_i32_e32 v107, 31, v106
	v_mov_b32_e32 v23, s15
	global_load_dwordx2 v[8:9], v[34:35], off
	s_waitcnt vmcnt(0)
	buffer_store_dword v8, off, s[56:59], 0 offset:248 ; 4-byte Folded Spill
	s_nop 0
	buffer_store_dword v9, off, s[56:59], 0 offset:252 ; 4-byte Folded Spill
	v_div_scale_f64 v[8:9], s[4:5], s[0:1], s[0:1], v[4:5]
	v_rcp_f64_e32 v[16:17], v[8:9]
	s_mov_b32 s4, 0x652b82fe
	s_mov_b32 s5, 0x3ff71547
	v_fma_f64 v[38:39], -v[8:9], v[16:17], 1.0
	v_fmac_f64_e32 v[16:17], v[16:17], v[38:39]
	v_fma_f64 v[38:39], -v[8:9], v[16:17], 1.0
	v_fmac_f64_e32 v[16:17], v[16:17], v[38:39]
	v_div_scale_f64 v[38:39], vcc, v[4:5], s[0:1], v[4:5]
	v_mul_f64 v[56:57], v[38:39], v[16:17]
	v_fma_f64 v[8:9], -v[8:9], v[56:57], v[38:39]
	s_nop 1
	v_div_fmas_f64 v[8:9], v[8:9], v[16:17], v[56:57]
	v_div_fixup_f64 v[8:9], v[8:9], s[0:1], v[4:5]
	buffer_store_dword v8, off, s[56:59], 0 offset:360 ; 4-byte Folded Spill
	s_nop 0
	buffer_store_dword v9, off, s[56:59], 0 offset:364 ; 4-byte Folded Spill
	s_mov_b32 s0, 0x6db6db6e
	s_mov_b32 s1, 0xc00db6db
	v_add_co_u32_e32 v26, vcc, s14, v26
	v_addc_co_u32_e32 v27, vcc, v7, v27, vcc
	v_add_f64 v[8:9], -v[8:9], s[0:1]
	v_mul_f64 v[16:17], v[8:9], s[4:5]
	v_rndne_f64_e32 v[16:17], v[16:17]
	s_mov_b32 s0, 0xfca7ab0c
	v_fma_f64 v[38:39], s[6:7], v[16:17], v[8:9]
	s_mov_b32 s1, 0x3e928af3
	v_fmac_f64_e32 v[38:39], s[8:9], v[16:17]
	v_pk_mov_b32 v[56:57], s[0:1], s[0:1] op_sel:[0,1]
	v_fma_f64 v[58:59], s[16:17], v[38:39], v[56:57]
	v_fma_f64 v[58:59], v[38:39], v[58:59], s[18:19]
	;; [unrolled: 1-line block ×9, first 2 shown]
	v_fma_f64 v[58:59], v[38:39], v[58:59], 1.0
	v_fma_f64 v[38:39], v[38:39], v[58:59], 1.0
	v_cvt_i32_f64_e32 v10, v[16:17]
	v_ldexp_f64 v[16:17], v[38:39], v10
	v_add_f64 v[16:17], v[16:17], 1.0
	v_div_scale_f64 v[38:39], s[0:1], v[16:17], v[16:17], 1.0
	v_rcp_f64_e32 v[58:59], v[38:39]
	v_cmp_nlt_f64_e64 s[0:1], s[36:37], v[8:9]
	v_mov_b32_e32 v10, 0x3ff00000
	v_fma_f64 v[6:7], -v[38:39], v[58:59], 1.0
	v_fmac_f64_e32 v[58:59], v[58:59], v[6:7]
	v_fma_f64 v[6:7], -v[38:39], v[58:59], 1.0
	v_fmac_f64_e32 v[58:59], v[58:59], v[6:7]
	v_div_scale_f64 v[6:7], vcc, 1.0, v[16:17], 1.0
	v_mul_f64 v[76:77], v[6:7], v[58:59]
	v_fma_f64 v[6:7], -v[38:39], v[76:77], v[6:7]
	s_nop 1
	v_div_fmas_f64 v[6:7], v[6:7], v[58:59], v[76:77]
	v_div_fixup_f64 v[6:7], v[6:7], v[16:17], 1.0
	v_div_scale_f64 v[16:17], s[40:41], s[38:39], s[38:39], v[4:5]
	v_rcp_f64_e32 v[38:39], v[16:17]
	s_mov_b32 s40, 0
	s_mov_b32 s41, 0xc090cc00
	v_cndmask_b32_e64 v7, 0, v7, s[0:1]
	v_fma_f64 v[58:59], -v[16:17], v[38:39], 1.0
	v_fmac_f64_e32 v[38:39], v[38:39], v[58:59]
	v_fma_f64 v[58:59], -v[16:17], v[38:39], 1.0
	v_fmac_f64_e32 v[38:39], v[38:39], v[58:59]
	v_div_scale_f64 v[58:59], vcc, v[4:5], s[38:39], v[4:5]
	v_mul_f64 v[76:77], v[58:59], v[38:39]
	v_fma_f64 v[16:17], -v[16:17], v[76:77], v[58:59]
	s_nop 1
	v_div_fmas_f64 v[16:17], v[16:17], v[38:39], v[76:77]
	v_div_fixup_f64 v[16:17], v[16:17], s[38:39], v[4:5]
	buffer_store_dword v16, off, s[56:59], 0 offset:176 ; 4-byte Folded Spill
	s_nop 0
	buffer_store_dword v17, off, s[56:59], 0 offset:180 ; 4-byte Folded Spill
	s_mov_b32 s38, 0
	s_mov_b32 s39, 0xc0120000
	v_cmp_ngt_f64_e32 vcc, s[40:41], v[8:9]
	v_cndmask_b32_e32 v93, v10, v7, vcc
	s_and_b64 vcc, vcc, s[0:1]
	v_cndmask_b32_e32 v92, 0, v6, vcc
	s_mov_b32 s0, 0x590b2162
	s_mov_b32 s1, 0x3fb642c8
	v_mov_b32_e32 v10, 0x407c2000
	v_add_f64 v[16:17], -v[16:17], s[38:39]
	v_mul_f64 v[58:59], v[16:17], s[4:5]
	v_rndne_f64_e32 v[58:59], v[58:59]
	v_fma_f64 v[76:77], s[6:7], v[58:59], v[16:17]
	v_fmac_f64_e32 v[76:77], s[8:9], v[58:59]
	v_fma_f64 v[88:89], s[16:17], v[76:77], v[56:57]
	v_fma_f64 v[88:89], v[76:77], v[88:89], s[18:19]
	;; [unrolled: 1-line block ×9, first 2 shown]
	v_fma_f64 v[88:89], v[76:77], v[88:89], 1.0
	v_fma_f64 v[76:77], v[76:77], v[88:89], 1.0
	v_cvt_i32_f64_e32 v11, v[58:59]
	v_ldexp_f64 v[58:59], v[76:77], v11
	s_mov_b32 s38, 0
	v_add_f64 v[58:59], v[58:59], 1.0
	s_mov_b32 s39, 0x407c2000
	v_div_scale_f64 v[76:77], s[42:43], v[58:59], v[58:59], s[38:39]
	v_rcp_f64_e32 v[88:89], v[76:77]
	v_fma_f64 v[6:7], -v[76:77], v[88:89], 1.0
	v_fmac_f64_e32 v[88:89], v[88:89], v[6:7]
	v_fma_f64 v[6:7], -v[76:77], v[88:89], 1.0
	v_fmac_f64_e32 v[88:89], v[88:89], v[6:7]
	v_div_scale_f64 v[6:7], vcc, s[38:39], v[58:59], s[38:39]
	v_mul_f64 v[8:9], v[6:7], v[88:89]
	v_fma_f64 v[6:7], -v[76:77], v[8:9], v[6:7]
	s_nop 1
	v_div_fmas_f64 v[6:7], v[6:7], v[88:89], v[8:9]
	v_mul_f64 v[8:9], v[4:5], s[0:1]
	v_div_fixup_f64 v[6:7], v[6:7], v[58:59], s[38:39]
	v_mul_f64 v[58:59], v[8:9], s[4:5]
	v_rndne_f64_e32 v[58:59], v[58:59]
	v_fma_f64 v[76:77], s[6:7], v[58:59], v[8:9]
	v_fmac_f64_e32 v[76:77], s[8:9], v[58:59]
	v_fmac_f64_e32 v[56:57], s[16:17], v[76:77]
	v_fma_f64 v[56:57], v[76:77], v[56:57], s[18:19]
	v_fma_f64 v[56:57], v[76:77], v[56:57], s[20:21]
	;; [unrolled: 1-line block ×8, first 2 shown]
	v_fma_f64 v[56:57], v[76:77], v[56:57], 1.0
	v_fma_f64 v[56:57], v[76:77], v[56:57], 1.0
	v_cvt_i32_f64_e32 v11, v[58:59]
	s_mov_b32 s0, 0x5e29ac20
	v_ldexp_f64 v[56:57], v[56:57], v11
	s_mov_b32 s1, 0x402b29a3
	s_mov_b32 s4, 0
	v_fma_f64 v[56:57], v[56:57], s[0:1], 1.0
	s_mov_b32 s5, 0x40180000
	v_div_scale_f64 v[58:59], s[0:1], v[56:57], v[56:57], s[4:5]
	v_rcp_f64_e32 v[76:77], v[58:59]
	v_cmp_nlt_f64_e32 vcc, s[36:37], v[16:17]
	v_cmp_ngt_f64_e64 s[0:1], s[40:41], v[16:17]
	v_cndmask_b32_e32 v7, 0, v7, vcc
	v_fma_f64 v[16:17], -v[58:59], v[76:77], 1.0
	v_fmac_f64_e32 v[76:77], v[76:77], v[16:17]
	s_and_b64 vcc, s[0:1], vcc
	v_fma_f64 v[16:17], -v[58:59], v[76:77], 1.0
	v_cndmask_b32_e32 v6, 0, v6, vcc
	v_fmac_f64_e32 v[76:77], v[76:77], v[16:17]
	v_div_scale_f64 v[16:17], vcc, s[4:5], v[56:57], s[4:5]
	v_mul_f64 v[88:89], v[16:17], v[76:77]
	v_fma_f64 v[16:17], -v[58:59], v[88:89], v[16:17]
	v_cndmask_b32_e64 v7, v10, v7, s[0:1]
	s_nop 0
	v_div_fmas_f64 v[16:17], v[16:17], v[76:77], v[88:89]
	v_div_fixup_f64 v[16:17], v[16:17], v[56:57], s[4:5]
	v_cmp_nlt_f64_e32 vcc, s[36:37], v[8:9]
	v_cmp_ngt_f64_e64 s[0:1], s[40:41], v[8:9]
	v_cndmask_b32_e32 v10, 0, v17, vcc
	v_mov_b32_e32 v11, 0x40180000
	s_and_b64 vcc, s[0:1], vcc
	v_cndmask_b32_e64 v9, v11, v10, s[0:1]
	v_cndmask_b32_e32 v8, 0, v16, vcc
	s_lshl_b64 s[0:1], s[2:3], 3
	v_mul_f64 v[8:9], v[6:7], v[8:9]
	v_mov_b32_e32 v22, s1
	v_add_co_u32_e32 v6, vcc, s0, v2
	v_addc_co_u32_e32 v7, vcc, v3, v22, vcc
	global_load_dwordx2 v[10:11], v[6:7], off
	s_waitcnt vmcnt(0)
	buffer_store_dword v10, off, s[56:59], 0 offset:64 ; 4-byte Folded Spill
	s_nop 0
	buffer_store_dword v11, off, s[56:59], 0 offset:68 ; 4-byte Folded Spill
	buffer_store_dword v82, off, s[56:59], 0 offset:376 ; 4-byte Folded Spill
	s_nop 0
	buffer_store_dword v83, off, s[56:59], 0 offset:380 ; 4-byte Folded Spill
	v_mov_b32_e32 v17, s15
	global_load_dwordx2 v[10:11], v[82:83], off
	s_waitcnt vmcnt(0)
	buffer_store_dword v10, off, s[56:59], 0 offset:16 ; 4-byte Folded Spill
	s_nop 0
	buffer_store_dword v11, off, s[56:59], 0 offset:20 ; 4-byte Folded Spill
	buffer_store_dword v52, off, s[56:59], 0 offset:368 ; 4-byte Folded Spill
	s_nop 0
	buffer_store_dword v53, off, s[56:59], 0 offset:372 ; 4-byte Folded Spill
	global_load_dwordx2 v[10:11], v[52:53], off
	s_waitcnt vmcnt(0)
	buffer_store_dword v10, off, s[56:59], 0 offset:48 ; 4-byte Folded Spill
	s_nop 0
	buffer_store_dword v11, off, s[56:59], 0 offset:52 ; 4-byte Folded Spill
	buffer_store_dword v30, off, s[56:59], 0 offset:56 ; 4-byte Folded Spill
	s_nop 0
	buffer_store_dword v31, off, s[56:59], 0 offset:60 ; 4-byte Folded Spill
	v_mov_b32_e32 v10, s15
	v_mov_b32_e32 v11, s15
	v_add_f64 v[76:77], v[92:93], -v[30:31]
	v_div_scale_f64 v[56:57], s[4:5], v[8:9], v[8:9], v[76:77]
	v_rcp_f64_e32 v[58:59], v[56:57]
	v_fma_f64 v[92:93], -v[56:57], v[58:59], 1.0
	v_fmac_f64_e32 v[58:59], v[58:59], v[92:93]
	v_fma_f64 v[92:93], -v[56:57], v[58:59], 1.0
	v_fmac_f64_e32 v[58:59], v[58:59], v[92:93]
	v_div_scale_f64 v[92:93], vcc, v[76:77], v[8:9], v[76:77]
	v_mul_f64 v[100:101], v[92:93], v[58:59]
	v_fma_f64 v[56:57], -v[56:57], v[100:101], v[92:93]
	s_nop 1
	v_div_fmas_f64 v[92:93], v[56:57], v[58:59], v[100:101]
	v_div_scale_f64 v[56:57], s[4:5], v[8:9], v[8:9], -1.0
	v_rcp_f64_e32 v[100:101], v[56:57]
	v_add_co_u32_e32 v58, vcc, s14, v98
	v_addc_co_u32_e32 v59, vcc, v10, v99, vcc
	v_fma_f64 v[98:99], -v[56:57], v[100:101], 1.0
	v_fmac_f64_e32 v[100:101], v[100:101], v[98:99]
	v_fma_f64 v[98:99], -v[56:57], v[100:101], 1.0
	v_fmac_f64_e32 v[100:101], v[100:101], v[98:99]
	v_div_scale_f64 v[98:99], vcc, -1.0, v[8:9], -1.0
	v_mul_f64 v[102:103], v[98:99], v[100:101]
	v_fma_f64 v[56:57], -v[56:57], v[102:103], v[98:99]
	v_div_fixup_f64 v[92:93], v[92:93], v[8:9], v[76:77]
	s_nop 0
	v_div_fmas_f64 v[98:99], v[56:57], v[100:101], v[102:103]
	v_lshlrev_b64 v[56:57], 3, v[106:107]
	v_add_co_u32_e32 v94, vcc, s14, v56
	v_add_u32_e32 v56, s2, v106
	v_addc_co_u32_e32 v95, vcc, v10, v57, vcc
	v_ashrrev_i32_e32 v57, 31, v56
	v_lshlrev_b64 v[100:101], 3, v[56:57]
	v_add_u32_e32 v56, s2, v56
	v_add_co_u32_e32 v100, vcc, s14, v100
	v_ashrrev_i32_e32 v57, 31, v56
	v_addc_co_u32_e32 v101, vcc, v10, v101, vcc
	v_lshlrev_b64 v[102:103], 3, v[56:57]
	v_add_u32_e32 v56, s2, v56
	v_add_co_u32_e32 v102, vcc, s14, v102
	v_ashrrev_i32_e32 v57, 31, v56
	v_addc_co_u32_e32 v103, vcc, v10, v103, vcc
	;; [unrolled: 5-line block ×8, first 2 shown]
	v_lshlrev_b64 v[114:115], 3, v[56:57]
	v_add_co_u32_e32 v124, vcc, s14, v114
	v_add_u32_e32 v114, s2, v56
	v_addc_co_u32_e32 v125, vcc, v10, v115, vcc
	v_ashrrev_i32_e32 v115, 31, v114
	v_lshlrev_b64 v[56:57], 3, v[114:115]
	v_add_u32_e32 v114, s2, v114
	v_add_co_u32_e32 v56, vcc, s14, v56
	v_ashrrev_i32_e32 v115, 31, v114
	v_addc_co_u32_e32 v57, vcc, v10, v57, vcc
	v_lshlrev_b64 v[122:123], 3, v[114:115]
	v_add_u32_e32 v114, s2, v114
	v_add_co_u32_e32 v86, vcc, s14, v122
	v_ashrrev_i32_e32 v115, 31, v114
	v_addc_co_u32_e32 v87, vcc, v10, v123, vcc
	;; [unrolled: 5-line block ×15, first 2 shown]
	v_lshlrev_b64 v[114:115], 3, v[114:115]
	v_add_co_u32_e32 v122, vcc, s14, v114
	v_addc_co_u32_e32 v123, vcc, v23, v115, vcc
	v_add_co_u32_e32 v76, vcc, s0, v12
	v_addc_co_u32_e32 v77, vcc, v13, v22, vcc
	global_load_dwordx2 v[12:13], v[12:13], off
	s_waitcnt vmcnt(0)
	buffer_store_dword v12, off, s[56:59], 0 offset:216 ; 4-byte Folded Spill
	s_nop 0
	buffer_store_dword v13, off, s[56:59], 0 offset:220 ; 4-byte Folded Spill
	global_load_dwordx2 v[12:13], v[76:77], off
	s_waitcnt vmcnt(0)
	buffer_store_dword v12, off, s[56:59], 0 offset:168 ; 4-byte Folded Spill
	s_nop 0
	buffer_store_dword v13, off, s[56:59], 0 offset:172 ; 4-byte Folded Spill
	buffer_load_dword v12, off, s[56:59], 0 offset:8 ; 4-byte Folded Reload
	s_nop 0
	buffer_load_dword v13, off, s[56:59], 0 offset:12 ; 4-byte Folded Reload
	v_div_fixup_f64 v[8:9], v[98:99], v[8:9], -1.0
	s_mov_b32 s0, 0xe2308c3a
	s_mov_b32 s1, 0x3e45798e
	v_cmp_ngt_f64_e64 s[0:1], |v[8:9]|, s[0:1]
	s_waitcnt vmcnt(0)
	global_load_dwordx2 v[12:13], v[12:13], off
	s_waitcnt vmcnt(0)
	buffer_store_dword v12, off, s[56:59], 0 offset:160 ; 4-byte Folded Spill
	s_nop 0
	buffer_store_dword v13, off, s[56:59], 0 offset:164 ; 4-byte Folded Spill
	global_load_dwordx2 v[12:13], v[18:19], off
	s_waitcnt vmcnt(0)
	buffer_store_dword v12, off, s[56:59], 0 offset:144 ; 4-byte Folded Spill
	s_nop 0
	buffer_store_dword v13, off, s[56:59], 0 offset:148 ; 4-byte Folded Spill
	;; [unrolled: 5-line block ×13, first 2 shown]
	global_load_dwordx2 v[76:77], v[64:65], off
	s_nop 0
	global_load_dwordx2 v[12:13], v[66:67], off
	s_waitcnt vmcnt(0)
	buffer_store_dword v12, off, s[56:59], 0 offset:88 ; 4-byte Folded Spill
	s_nop 0
	buffer_store_dword v13, off, s[56:59], 0 offset:92 ; 4-byte Folded Spill
	global_load_dwordx2 v[12:13], v[68:69], off
	s_waitcnt vmcnt(0)
	buffer_store_dword v12, off, s[56:59], 0 offset:96 ; 4-byte Folded Spill
	s_nop 0
	buffer_store_dword v13, off, s[56:59], 0 offset:100 ; 4-byte Folded Spill
	;; [unrolled: 5-line block ×3, first 2 shown]
	buffer_load_dword v70, off, s[56:59], 0 offset:448 ; 4-byte Folded Reload
	buffer_load_dword v71, off, s[56:59], 0 offset:452 ; 4-byte Folded Reload
	global_load_dwordx2 v[98:99], v[72:73], off
	s_nop 0
	global_load_dwordx2 v[12:13], v[74:75], off
	global_load_dwordx2 v[18:19], v[78:79], off
	s_waitcnt vmcnt(0)
	buffer_store_dword v18, off, s[56:59], 0 offset:416 ; 4-byte Folded Spill
	s_nop 0
	buffer_store_dword v19, off, s[56:59], 0 offset:420 ; 4-byte Folded Spill
	global_load_dwordx2 v[18:19], v[80:81], off
	s_waitcnt vmcnt(0)
	buffer_store_dword v18, off, s[56:59], 0 offset:304 ; 4-byte Folded Spill
	s_nop 0
	buffer_store_dword v19, off, s[56:59], 0 offset:308 ; 4-byte Folded Spill
	;; [unrolled: 5-line block ×3, first 2 shown]
	global_load_dwordx2 v[54:55], v[90:91], off
	s_nop 0
	global_load_dwordx2 v[18:19], v[26:27], off
	s_waitcnt vmcnt(0)
	buffer_store_dword v18, off, s[56:59], 0 offset:336 ; 4-byte Folded Spill
	s_nop 0
	buffer_store_dword v19, off, s[56:59], 0 offset:340 ; 4-byte Folded Spill
	global_load_dwordx2 v[40:41], v[58:59], off
	s_nop 0
	buffer_load_dword v58, off, s[56:59], 0 offset:456 ; 4-byte Folded Reload
	buffer_load_dword v59, off, s[56:59], 0 offset:460 ; 4-byte Folded Reload
	global_load_dwordx2 v[74:75], v[94:95], off
	global_load_dwordx2 v[18:19], v[100:101], off
	s_waitcnt vmcnt(0)
	buffer_store_dword v18, off, s[56:59], 0 offset:424 ; 4-byte Folded Spill
	s_nop 0
	buffer_store_dword v19, off, s[56:59], 0 offset:428 ; 4-byte Folded Spill
	global_load_dwordx2 v[100:101], v[102:103], off
	global_load_dwordx2 v[32:33], v[106:107], off
	s_nop 0
	global_load_dwordx2 v[18:19], v[108:109], off
	s_waitcnt vmcnt(0)
	buffer_store_dword v18, off, s[56:59], 0 offset:296 ; 4-byte Folded Spill
	s_nop 0
	buffer_store_dword v19, off, s[56:59], 0 offset:300 ; 4-byte Folded Spill
	global_load_dwordx2 v[110:111], v[110:111], off
	s_nop 0
	global_load_dwordx2 v[106:107], v[116:117], off
	global_load_dwordx2 v[108:109], v[118:119], off
	global_load_dwordx2 v[102:103], v[120:121], off
	global_load_dwordx2 v[44:45], v[124:125], off
	global_load_dwordx2 v[18:19], v[56:57], off
	s_waitcnt vmcnt(0)
	buffer_store_dword v18, off, s[56:59], 0 offset:320 ; 4-byte Folded Spill
	s_nop 0
	buffer_store_dword v19, off, s[56:59], 0 offset:324 ; 4-byte Folded Spill
	global_load_dwordx2 v[116:117], v[86:87], off
	s_nop 0
	buffer_load_dword v86, off, s[56:59], 0 offset:432 ; 4-byte Folded Reload
	buffer_load_dword v87, off, s[56:59], 0 offset:436 ; 4-byte Folded Reload
	global_load_dwordx2 v[18:19], v[38:39], off
	s_waitcnt vmcnt(0)
	buffer_store_dword v18, off, s[56:59], 0 offset:312 ; 4-byte Folded Spill
	s_nop 0
	buffer_store_dword v19, off, s[56:59], 0 offset:316 ; 4-byte Folded Spill
	global_load_dwordx2 v[18:19], v[88:89], off
	s_nop 0
	buffer_load_dword v88, off, s[56:59], 0 offset:408 ; 4-byte Folded Reload
	buffer_load_dword v89, off, s[56:59], 0 offset:412 ; 4-byte Folded Reload
	s_waitcnt vmcnt(2)
	buffer_store_dword v18, off, s[56:59], 0 offset:328 ; 4-byte Folded Spill
	s_nop 0
	buffer_store_dword v19, off, s[56:59], 0 offset:332 ; 4-byte Folded Spill
	global_load_dwordx2 v[18:19], v[96:97], off
	s_nop 0
	buffer_load_dword v96, off, s[56:59], 0 offset:400 ; 4-byte Folded Reload
	buffer_load_dword v97, off, s[56:59], 0 offset:404 ; 4-byte Folded Reload
	s_waitcnt vmcnt(2)
	buffer_store_dword v18, off, s[56:59], 0 offset:344 ; 4-byte Folded Spill
	s_nop 0
	buffer_store_dword v19, off, s[56:59], 0 offset:348 ; 4-byte Folded Spill
	global_load_dwordx2 v[84:85], v[104:105], off
	s_nop 0
	buffer_load_dword v104, off, s[56:59], 0 offset:392 ; 4-byte Folded Reload
	buffer_load_dword v105, off, s[56:59], 0 offset:396 ; 4-byte Folded Reload
	global_load_dwordx2 v[56:57], v[10:11], off
	global_load_dwordx2 v[20:21], v[16:17], off
	s_nop 0
	global_load_dwordx2 v[10:11], v[126:127], off
	s_waitcnt vmcnt(0)
	buffer_store_dword v10, off, s[56:59], 0 offset:32 ; 4-byte Folded Spill
	s_nop 0
	buffer_store_dword v11, off, s[56:59], 0 offset:36 ; 4-byte Folded Spill
	global_load_dwordx2 v[10:11], v[34:35], off
	s_waitcnt vmcnt(0)
	buffer_store_dword v10, off, s[56:59], 0 offset:40 ; 4-byte Folded Spill
	s_nop 0
	buffer_store_dword v11, off, s[56:59], 0 offset:44 ; 4-byte Folded Spill
	global_load_dwordx2 v[94:95], v[52:53], off
	s_nop 0
	global_load_dwordx2 v[10:11], v[82:83], off
	s_nop 0
	buffer_load_dword v82, off, s[56:59], 0 offset:440 ; 4-byte Folded Reload
	buffer_load_dword v83, off, s[56:59], 0 offset:444 ; 4-byte Folded Reload
	s_waitcnt vmcnt(2)
	buffer_store_dword v10, off, s[56:59], 0 offset:184 ; 4-byte Folded Spill
	s_nop 0
	buffer_store_dword v11, off, s[56:59], 0 offset:188 ; 4-byte Folded Spill
	global_load_dwordx2 v[10:11], v[112:113], off
	s_nop 0
	buffer_load_dword v112, off, s[56:59], 0 offset:384 ; 4-byte Folded Reload
	buffer_load_dword v113, off, s[56:59], 0 offset:388 ; 4-byte Folded Reload
	s_waitcnt vmcnt(2)
	buffer_store_dword v10, off, s[56:59], 0 offset:200 ; 4-byte Folded Spill
	s_nop 0
	buffer_store_dword v11, off, s[56:59], 0 offset:204 ; 4-byte Folded Spill
	global_load_dwordx2 v[78:79], v[28:29], off
	s_nop 0
	global_load_dwordx2 v[10:11], v[30:31], off
	s_waitcnt vmcnt(0)
	buffer_store_dword v10, off, s[56:59], 0 offset:208 ; 4-byte Folded Spill
	s_nop 0
	buffer_store_dword v11, off, s[56:59], 0 offset:212 ; 4-byte Folded Spill
	global_load_dwordx2 v[80:81], v[122:123], off
	global_load_dwordx2 v[90:91], v[112:113], off
	;; [unrolled: 1-line block ×9, first 2 shown]
	s_nop 0
	buffer_store_dword v14, off, s[56:59], 0 offset:280 ; 4-byte Folded Spill
	s_nop 0
	buffer_store_dword v15, off, s[56:59], 0 offset:284 ; 4-byte Folded Spill
                                        ; implicit-def: $vgpr26_vgpr27
	global_load_dwordx2 v[42:43], v[14:15], off
	s_nop 0
	buffer_store_dword v50, off, s[56:59], 0 offset:240 ; 4-byte Folded Spill
	s_nop 0
	buffer_store_dword v51, off, s[56:59], 0 offset:244 ; 4-byte Folded Spill
	global_load_dwordx2 v[118:119], v[50:51], off
	s_nop 0
	buffer_store_dword v0, off, s[56:59], 0 offset:224 ; 4-byte Folded Spill
	s_nop 0
	buffer_store_dword v1, off, s[56:59], 0 offset:228 ; 4-byte Folded Spill
	;; [unrolled: 5-line block ×3, first 2 shown]
	global_load_dwordx2 v[68:69], v[46:47], off
	s_and_saveexec_b64 s[2:3], s[0:1]
	s_xor_b64 s[0:1], exec, s[2:3]
; %bb.2:
	v_mul_f64 v[26:27], v[92:93], s[12:13]
                                        ; implicit-def: $vgpr8_vgpr9
                                        ; implicit-def: $vgpr92_vgpr93
; %bb.3:
	s_andn2_saveexec_b64 s[2:3], s[0:1]
	s_cbranch_execz .LBB0_5
; %bb.4:
	s_mov_b32 s0, 0x652b82fe
	v_mul_f64 v[10:11], v[8:9], s[12:13]
	s_mov_b32 s1, 0x3ff71547
	v_mul_f64 v[16:17], v[10:11], s[0:1]
	s_mov_b32 s0, 0xfefa39ef
	v_rndne_f64_e32 v[16:17], v[16:17]
	s_mov_b32 s1, 0xbfe62e42
	v_fma_f64 v[26:27], s[0:1], v[16:17], v[10:11]
	s_mov_b32 s0, 0x3b39803f
	s_mov_b32 s1, 0xbc7abc9e
	v_fmac_f64_e32 v[26:27], s[0:1], v[16:17]
	s_mov_b32 s0, 0x6a5dcb37
	v_mov_b32_e32 v28, 0xfca7ab0c
	v_mov_b32_e32 v29, 0x3e928af3
	s_mov_b32 s1, 0x3e5ade15
	v_fmac_f64_e32 v[28:29], s[0:1], v[26:27]
	v_mov_b32_e32 v30, 0x623fde64
	v_mov_b32_e32 v31, 0x3ec71dee
	v_fmac_f64_e32 v[30:31], v[26:27], v[28:29]
	v_mov_b32_e32 v28, 0x7c89e6b0
	v_mov_b32_e32 v29, 0x3efa0199
	v_fmac_f64_e32 v[28:29], v[26:27], v[30:31]
	v_mov_b32_e32 v30, 0x14761f6e
	v_mov_b32_e32 v31, 0x3f2a01a0
	v_fmac_f64_e32 v[30:31], v[26:27], v[28:29]
	v_mov_b32_e32 v28, 0x1852b7b0
	v_mov_b32_e32 v29, 0x3f56c16c
	v_fmac_f64_e32 v[28:29], v[26:27], v[30:31]
	v_mov_b32_e32 v30, 0x11122322
	v_mov_b32_e32 v31, 0x3f811111
	v_fmac_f64_e32 v[30:31], v[26:27], v[28:29]
	v_mov_b32_e32 v28, 0x555502a1
	v_mov_b32_e32 v29, 0x3fa55555
	v_fmac_f64_e32 v[28:29], v[26:27], v[30:31]
	v_mov_b32_e32 v30, 0x55555511
	v_mov_b32_e32 v31, 0x3fc55555
	v_fmac_f64_e32 v[30:31], v[26:27], v[28:29]
	v_mov_b32_e32 v28, 11
	v_mov_b32_e32 v29, 0x3fe00000
	v_fmac_f64_e32 v[28:29], v[26:27], v[30:31]
	s_mov_b32 s0, 0
	v_fma_f64 v[28:29], v[26:27], v[28:29], 1.0
	s_mov_b32 s1, 0x40900000
	v_fma_f64 v[26:27], v[26:27], v[28:29], 1.0
	v_cvt_i32_f64_e32 v16, v[16:17]
	v_cmp_nlt_f64_e32 vcc, s[0:1], v[10:11]
	s_mov_b32 s0, 0
	v_ldexp_f64 v[16:17], v[26:27], v16
	s_mov_b32 s1, 0xc090cc00
	v_add_f64 v[16:17], v[16:17], -1.0
	v_mov_b32_e32 v22, 0x7ff00000
	v_cmp_ngt_f64_e64 s[0:1], s[0:1], v[10:11]
	v_cndmask_b32_e32 v17, v22, v17, vcc
	v_mov_b32_e32 v22, 0xbff00000
	s_and_b64 vcc, s[0:1], vcc
	v_cndmask_b32_e64 v11, v22, v17, s[0:1]
	v_cndmask_b32_e32 v10, 0, v16, vcc
	v_mul_f64 v[10:11], v[92:93], v[10:11]
	v_div_scale_f64 v[16:17], s[0:1], v[8:9], v[8:9], v[10:11]
	v_rcp_f64_e32 v[26:27], v[16:17]
	v_fma_f64 v[28:29], -v[16:17], v[26:27], 1.0
	v_fmac_f64_e32 v[26:27], v[26:27], v[28:29]
	v_fma_f64 v[28:29], -v[16:17], v[26:27], 1.0
	v_fmac_f64_e32 v[26:27], v[26:27], v[28:29]
	v_div_scale_f64 v[28:29], vcc, v[10:11], v[8:9], v[10:11]
	v_mul_f64 v[30:31], v[28:29], v[26:27]
	v_fma_f64 v[16:17], -v[16:17], v[30:31], v[28:29]
	s_nop 1
	v_div_fmas_f64 v[16:17], v[16:17], v[26:27], v[30:31]
	v_div_fixup_f64 v[26:27], v[16:17], v[8:9], v[10:11]
.LBB0_5:
	s_or_b64 exec, exec, s[2:3]
	buffer_load_dword v8, off, s[56:59], 0 offset:56 ; 4-byte Folded Reload
	buffer_load_dword v9, off, s[56:59], 0 offset:60 ; 4-byte Folded Reload
	s_mov_b32 s0, 0
	s_mov_b32 s1, 0x40380000
	;; [unrolled: 1-line block ×22, first 2 shown]
                                        ; implicit-def: $vgpr48_vgpr49
	s_waitcnt vmcnt(0)
	v_add_f64 v[8:9], v[8:9], v[26:27]
	global_store_dwordx2 v[2:3], v[8:9], off
	v_div_scale_f64 v[2:3], s[2:3], s[0:1], s[0:1], v[4:5]
	v_rcp_f64_e32 v[8:9], v[2:3]
	s_mov_b32 s2, 0x652b82fe
	s_mov_b32 s3, 0x3ff71547
	v_fma_f64 v[10:11], -v[2:3], v[8:9], 1.0
	v_fmac_f64_e32 v[8:9], v[8:9], v[10:11]
	v_fma_f64 v[10:11], -v[2:3], v[8:9], 1.0
	v_fmac_f64_e32 v[8:9], v[8:9], v[10:11]
	v_div_scale_f64 v[10:11], vcc, v[4:5], s[0:1], v[4:5]
	v_mul_f64 v[16:17], v[10:11], v[8:9]
	v_fma_f64 v[2:3], -v[2:3], v[16:17], v[10:11]
	s_nop 1
	v_div_fmas_f64 v[2:3], v[2:3], v[8:9], v[16:17]
	v_div_fixup_f64 v[2:3], v[2:3], s[0:1], v[4:5]
	s_mov_b32 s0, 0x55555555
	s_mov_b32 s1, 0x400d5555
	v_add_f64 v[2:3], v[2:3], s[0:1]
	v_mul_f64 v[8:9], v[2:3], s[2:3]
	v_rndne_f64_e32 v[10:11], v[8:9]
	s_mov_b32 s0, 0xfca7ab0c
	v_fma_f64 v[16:17], s[4:5], v[10:11], v[2:3]
	s_mov_b32 s1, 0x3e928af3
	v_fmac_f64_e32 v[16:17], s[6:7], v[10:11]
	v_pk_mov_b32 v[8:9], s[0:1], s[0:1] op_sel:[0,1]
	v_fma_f64 v[26:27], s[8:9], v[16:17], v[8:9]
	v_fma_f64 v[26:27], v[16:17], v[26:27], s[14:15]
	;; [unrolled: 1-line block ×9, first 2 shown]
	v_fma_f64 v[26:27], v[16:17], v[26:27], 1.0
	v_fma_f64 v[16:17], v[16:17], v[26:27], 1.0
	v_cvt_i32_f64_e32 v10, v[10:11]
	v_ldexp_f64 v[10:11], v[16:17], v10
	v_add_f64 v[10:11], v[10:11], 1.0
	v_div_scale_f64 v[16:17], s[0:1], v[10:11], v[10:11], 1.0
	v_rcp_f64_e32 v[26:27], v[16:17]
	v_cmp_ngt_f64_e64 s[0:1], s[26:27], v[2:3]
	v_fma_f64 v[28:29], -v[16:17], v[26:27], 1.0
	v_fmac_f64_e32 v[26:27], v[26:27], v[28:29]
	v_fma_f64 v[28:29], -v[16:17], v[26:27], 1.0
	v_fmac_f64_e32 v[26:27], v[26:27], v[28:29]
	v_div_scale_f64 v[28:29], vcc, 1.0, v[10:11], 1.0
	v_mul_f64 v[30:31], v[28:29], v[26:27]
	v_fma_f64 v[16:17], -v[16:17], v[30:31], v[28:29]
	s_nop 1
	v_div_fmas_f64 v[16:17], v[16:17], v[26:27], v[30:31]
	v_div_fixup_f64 v[10:11], v[16:17], v[10:11], 1.0
	v_cmp_nlt_f64_e32 vcc, s[24:25], v[2:3]
	v_cndmask_b32_e32 v11, 0, v11, vcc
	v_mov_b32_e32 v2, 0x3ff00000
	s_and_b64 vcc, s[0:1], vcc
	v_cndmask_b32_e64 v27, v2, v11, s[0:1]
	s_mov_b32 s0, 0
	s_mov_b32 s1, 0x40340000
	v_div_scale_f64 v[2:3], s[36:37], s[0:1], s[0:1], v[4:5]
	v_cndmask_b32_e32 v26, 0, v10, vcc
	v_rcp_f64_e32 v[10:11], v[2:3]
	s_mov_b32 s36, 0
	s_mov_b32 s37, 0xc0080000
	v_fma_f64 v[16:17], -v[2:3], v[10:11], 1.0
	v_fmac_f64_e32 v[10:11], v[10:11], v[16:17]
	v_fma_f64 v[16:17], -v[2:3], v[10:11], 1.0
	v_fmac_f64_e32 v[10:11], v[10:11], v[16:17]
	v_div_scale_f64 v[16:17], vcc, v[4:5], s[0:1], v[4:5]
	v_mul_f64 v[28:29], v[16:17], v[10:11]
	v_fma_f64 v[2:3], -v[2:3], v[28:29], v[16:17]
	s_nop 1
	v_div_fmas_f64 v[2:3], v[2:3], v[10:11], v[28:29]
	v_div_fixup_f64 v[2:3], v[2:3], s[0:1], v[4:5]
	v_add_f64 v[10:11], -v[2:3], s[36:37]
	v_mul_f64 v[16:17], v[10:11], s[2:3]
	v_rndne_f64_e32 v[16:17], v[16:17]
	v_fma_f64 v[28:29], s[4:5], v[16:17], v[10:11]
	v_fmac_f64_e32 v[28:29], s[6:7], v[16:17]
	v_fma_f64 v[30:31], s[8:9], v[28:29], v[8:9]
	v_fma_f64 v[30:31], v[28:29], v[30:31], s[14:15]
	;; [unrolled: 1-line block ×9, first 2 shown]
	v_fma_f64 v[30:31], v[28:29], v[30:31], 1.0
	v_fma_f64 v[28:29], v[28:29], v[30:31], 1.0
	v_cvt_i32_f64_e32 v16, v[16:17]
	v_ldexp_f64 v[16:17], v[28:29], v16
	s_mov_b32 s0, 0
	v_add_f64 v[16:17], v[16:17], 1.0
	s_mov_b32 s1, 0x40080000
	v_div_scale_f64 v[28:29], s[38:39], v[16:17], v[16:17], s[0:1]
	v_rcp_f64_e32 v[30:31], v[28:29]
	v_fma_f64 v[34:35], -v[28:29], v[30:31], 1.0
	v_fmac_f64_e32 v[30:31], v[30:31], v[34:35]
	v_fma_f64 v[34:35], -v[28:29], v[30:31], 1.0
	v_fmac_f64_e32 v[30:31], v[30:31], v[34:35]
	v_div_scale_f64 v[34:35], vcc, s[0:1], v[16:17], s[0:1]
	v_mul_f64 v[38:39], v[34:35], v[30:31]
	v_fma_f64 v[28:29], -v[28:29], v[38:39], v[34:35]
	s_nop 1
	v_div_fmas_f64 v[28:29], v[28:29], v[30:31], v[38:39]
	v_div_fixup_f64 v[16:17], v[28:29], v[16:17], s[0:1]
	v_cmp_nlt_f64_e32 vcc, s[24:25], v[10:11]
	v_cmp_ngt_f64_e64 s[0:1], s[26:27], v[10:11]
	v_cndmask_b32_e32 v17, 0, v17, vcc
	s_and_b64 vcc, s[0:1], vcc
	v_mov_b32_e32 v11, 0x40080000
	v_cndmask_b32_e32 v10, 0, v16, vcc
	v_cndmask_b32_e64 v11, v11, v17, s[0:1]
	v_add_f64 v[16:17], v[2:3], s[36:37]
	v_mul_f64 v[28:29], v[16:17], s[2:3]
	v_rndne_f64_e32 v[28:29], v[28:29]
	v_fma_f64 v[30:31], s[4:5], v[28:29], v[16:17]
	v_fmac_f64_e32 v[30:31], s[6:7], v[28:29]
	v_fmac_f64_e32 v[8:9], s[8:9], v[30:31]
	v_fma_f64 v[8:9], v[30:31], v[8:9], s[14:15]
	v_fma_f64 v[8:9], v[30:31], v[8:9], s[16:17]
	;; [unrolled: 1-line block ×8, first 2 shown]
	v_fma_f64 v[8:9], v[30:31], v[8:9], 1.0
	v_fma_f64 v[8:9], v[30:31], v[8:9], 1.0
	v_cvt_i32_f64_e32 v22, v[28:29]
	v_ldexp_f64 v[8:9], v[8:9], v22
	s_mov_b32 s0, 0x1eb851ec
	v_add_f64 v[8:9], v[8:9], 1.0
	s_mov_b32 s1, 0x3ff1eb85
	v_div_scale_f64 v[28:29], s[2:3], v[8:9], v[8:9], s[0:1]
	v_rcp_f64_e32 v[30:31], v[28:29]
	v_fma_f64 v[34:35], -v[28:29], v[30:31], 1.0
	v_fmac_f64_e32 v[30:31], v[30:31], v[34:35]
	v_fma_f64 v[34:35], -v[28:29], v[30:31], 1.0
	v_fmac_f64_e32 v[30:31], v[30:31], v[34:35]
	v_div_scale_f64 v[34:35], vcc, s[0:1], v[8:9], s[0:1]
	v_mul_f64 v[38:39], v[34:35], v[30:31]
	v_fma_f64 v[28:29], -v[28:29], v[38:39], v[34:35]
	s_nop 1
	v_div_fmas_f64 v[28:29], v[28:29], v[30:31], v[38:39]
	buffer_load_dword v38, off, s[56:59], 0 offset:64 ; 4-byte Folded Reload
	buffer_load_dword v39, off, s[56:59], 0 offset:68 ; 4-byte Folded Reload
	v_div_fixup_f64 v[8:9], v[28:29], v[8:9], s[0:1]
	v_cmp_nlt_f64_e32 vcc, s[24:25], v[16:17]
	v_cndmask_b32_e32 v8, 0, v8, vcc
	v_cndmask_b32_e32 v9, 0, v9, vcc
	v_cmp_ngt_f64_e32 vcc, s[26:27], v[16:17]
	v_mov_b32_e32 v16, 0x3ff1eb85
	v_cndmask_b32_e32 v9, v16, v9, vcc
	v_mov_b32_e32 v16, 0x1eb851ec
	v_cndmask_b32_e32 v8, v16, v8, vcc
	v_mul_f64 v[10:11], v[10:11], v[8:9]
	s_waitcnt vmcnt(0)
	v_add_f64 v[8:9], v[26:27], -v[38:39]
	v_div_scale_f64 v[16:17], s[0:1], v[10:11], v[10:11], v[8:9]
	v_rcp_f64_e32 v[26:27], v[16:17]
	v_fma_f64 v[28:29], -v[16:17], v[26:27], 1.0
	v_fmac_f64_e32 v[26:27], v[26:27], v[28:29]
	v_fma_f64 v[28:29], -v[16:17], v[26:27], 1.0
	v_fmac_f64_e32 v[26:27], v[26:27], v[28:29]
	v_div_scale_f64 v[28:29], vcc, v[8:9], v[10:11], v[8:9]
	v_mul_f64 v[30:31], v[28:29], v[26:27]
	v_fma_f64 v[16:17], -v[16:17], v[30:31], v[28:29]
	s_nop 1
	v_div_fmas_f64 v[16:17], v[16:17], v[26:27], v[30:31]
	v_div_fixup_f64 v[8:9], v[16:17], v[10:11], v[8:9]
	v_div_scale_f64 v[16:17], s[0:1], v[10:11], v[10:11], -1.0
	v_rcp_f64_e32 v[26:27], v[16:17]
	s_mov_b32 s0, 0xe2308c3a
	s_mov_b32 s1, 0x3e45798e
	v_fma_f64 v[28:29], -v[16:17], v[26:27], 1.0
	v_fmac_f64_e32 v[26:27], v[26:27], v[28:29]
	v_fma_f64 v[28:29], -v[16:17], v[26:27], 1.0
	v_fmac_f64_e32 v[26:27], v[26:27], v[28:29]
	v_div_scale_f64 v[28:29], vcc, -1.0, v[10:11], -1.0
	v_mul_f64 v[30:31], v[28:29], v[26:27]
	v_fma_f64 v[16:17], -v[16:17], v[30:31], v[28:29]
	s_nop 1
	v_div_fmas_f64 v[16:17], v[16:17], v[26:27], v[30:31]
	v_div_fixup_f64 v[26:27], v[16:17], v[10:11], -1.0
	v_cmp_ngt_f64_e64 s[0:1], |v[26:27]|, s[0:1]
	s_mov_b64 s[2:3], exec
	buffer_load_dword v72, off, s[56:59], 0 offset:248 ; 4-byte Folded Reload
	buffer_load_dword v73, off, s[56:59], 0 offset:252 ; 4-byte Folded Reload
	s_and_b64 s[4:5], s[2:3], s[0:1]
	s_xor_b64 s[0:1], s[4:5], s[2:3]
	v_pk_mov_b32 v[14:15], v[56:57], v[56:57] op_sel:[0,1]
	s_mov_b64 exec, s[4:5]
; %bb.6:
	v_mul_f64 v[48:49], v[8:9], s[12:13]
                                        ; implicit-def: $vgpr26_vgpr27
                                        ; implicit-def: $vgpr8_vgpr9
; %bb.7:
	s_andn2_saveexec_b64 s[2:3], s[0:1]
	s_cbranch_execz .LBB0_9
; %bb.8:
	s_mov_b32 s0, 0x652b82fe
	v_mul_f64 v[10:11], v[26:27], s[12:13]
	s_mov_b32 s1, 0x3ff71547
	v_mul_f64 v[16:17], v[10:11], s[0:1]
	s_mov_b32 s0, 0xfefa39ef
	v_rndne_f64_e32 v[16:17], v[16:17]
	s_mov_b32 s1, 0xbfe62e42
	v_fma_f64 v[28:29], s[0:1], v[16:17], v[10:11]
	s_mov_b32 s0, 0x3b39803f
	s_mov_b32 s1, 0xbc7abc9e
	v_fmac_f64_e32 v[28:29], s[0:1], v[16:17]
	s_mov_b32 s0, 0x6a5dcb37
	v_mov_b32_e32 v30, 0xfca7ab0c
	v_mov_b32_e32 v31, 0x3e928af3
	s_mov_b32 s1, 0x3e5ade15
	v_fmac_f64_e32 v[30:31], s[0:1], v[28:29]
	v_mov_b32_e32 v34, 0x623fde64
	v_mov_b32_e32 v35, 0x3ec71dee
	v_fmac_f64_e32 v[34:35], v[28:29], v[30:31]
	v_mov_b32_e32 v30, 0x7c89e6b0
	v_mov_b32_e32 v31, 0x3efa0199
	v_fmac_f64_e32 v[30:31], v[28:29], v[34:35]
	v_mov_b32_e32 v34, 0x14761f6e
	v_mov_b32_e32 v35, 0x3f2a01a0
	v_fmac_f64_e32 v[34:35], v[28:29], v[30:31]
	v_mov_b32_e32 v30, 0x1852b7b0
	v_mov_b32_e32 v31, 0x3f56c16c
	v_fmac_f64_e32 v[30:31], v[28:29], v[34:35]
	v_mov_b32_e32 v34, 0x11122322
	v_mov_b32_e32 v35, 0x3f811111
	v_fmac_f64_e32 v[34:35], v[28:29], v[30:31]
	v_mov_b32_e32 v30, 0x555502a1
	v_mov_b32_e32 v31, 0x3fa55555
	v_fmac_f64_e32 v[30:31], v[28:29], v[34:35]
	v_mov_b32_e32 v34, 0x55555511
	v_mov_b32_e32 v35, 0x3fc55555
	v_fmac_f64_e32 v[34:35], v[28:29], v[30:31]
	v_mov_b32_e32 v30, 11
	v_mov_b32_e32 v31, 0x3fe00000
	v_fmac_f64_e32 v[30:31], v[28:29], v[34:35]
	s_mov_b32 s0, 0
	v_fma_f64 v[30:31], v[28:29], v[30:31], 1.0
	s_mov_b32 s1, 0x40900000
	v_fma_f64 v[28:29], v[28:29], v[30:31], 1.0
	v_cvt_i32_f64_e32 v16, v[16:17]
	v_cmp_nlt_f64_e32 vcc, s[0:1], v[10:11]
	s_mov_b32 s0, 0
	v_ldexp_f64 v[16:17], v[28:29], v16
	s_mov_b32 s1, 0xc090cc00
	v_add_f64 v[16:17], v[16:17], -1.0
	v_mov_b32_e32 v22, 0x7ff00000
	v_cmp_ngt_f64_e64 s[0:1], s[0:1], v[10:11]
	v_cndmask_b32_e32 v17, v22, v17, vcc
	v_mov_b32_e32 v22, 0xbff00000
	s_and_b64 vcc, s[0:1], vcc
	v_cndmask_b32_e64 v11, v22, v17, s[0:1]
	v_cndmask_b32_e32 v10, 0, v16, vcc
	v_mul_f64 v[8:9], v[8:9], v[10:11]
	v_div_scale_f64 v[10:11], s[0:1], v[26:27], v[26:27], v[8:9]
	v_rcp_f64_e32 v[16:17], v[10:11]
	v_fma_f64 v[28:29], -v[10:11], v[16:17], 1.0
	v_fmac_f64_e32 v[16:17], v[16:17], v[28:29]
	v_fma_f64 v[28:29], -v[10:11], v[16:17], 1.0
	v_fmac_f64_e32 v[16:17], v[16:17], v[28:29]
	v_div_scale_f64 v[28:29], vcc, v[8:9], v[26:27], v[8:9]
	v_mul_f64 v[30:31], v[28:29], v[16:17]
	v_fma_f64 v[10:11], -v[10:11], v[30:31], v[28:29]
	s_nop 1
	v_div_fmas_f64 v[10:11], v[10:11], v[16:17], v[30:31]
	v_div_fixup_f64 v[48:49], v[10:11], v[26:27], v[8:9]
.LBB0_9:
	s_or_b64 exec, exec, s[2:3]
	s_mov_b32 s0, 0
	v_add_f64 v[8:9], v[38:39], v[48:49]
	s_mov_b32 s1, 0xc02c0000
	global_store_dwordx2 v[6:7], v[8:9], off
	v_div_scale_f64 v[6:7], s[2:3], s[0:1], s[0:1], v[4:5]
	v_rcp_f64_e32 v[8:9], v[6:7]
	s_mov_b32 s2, 0x652b82fe
	s_mov_b32 s3, 0x3ff71547
	;; [unrolled: 1-line block ×3, first 2 shown]
	v_fma_f64 v[10:11], -v[6:7], v[8:9], 1.0
	v_fmac_f64_e32 v[8:9], v[8:9], v[10:11]
	v_fma_f64 v[10:11], -v[6:7], v[8:9], 1.0
	v_fmac_f64_e32 v[8:9], v[8:9], v[10:11]
	v_div_scale_f64 v[10:11], vcc, v[4:5], s[0:1], v[4:5]
	v_mul_f64 v[16:17], v[10:11], v[8:9]
	v_fma_f64 v[6:7], -v[6:7], v[16:17], v[10:11]
	s_mov_b32 s5, 0xbfe62e42
	s_nop 0
	v_div_fmas_f64 v[6:7], v[6:7], v[8:9], v[16:17]
	v_div_fixup_f64 v[6:7], v[6:7], s[0:1], v[4:5]
	s_mov_b32 s0, 0xb6db6db7
	s_mov_b32 s1, 0xbfd6db6d
	v_add_f64 v[8:9], v[6:7], s[0:1]
	v_mul_f64 v[6:7], v[8:9], s[2:3]
	v_rndne_f64_e32 v[10:11], v[6:7]
	s_mov_b32 s0, 0xfca7ab0c
	v_fma_f64 v[16:17], s[4:5], v[10:11], v[8:9]
	s_mov_b32 s1, 0x3e928af3
	v_fmac_f64_e32 v[16:17], s[6:7], v[10:11]
	v_pk_mov_b32 v[6:7], s[0:1], s[0:1] op_sel:[0,1]
	v_fma_f64 v[26:27], s[8:9], v[16:17], v[6:7]
	v_fma_f64 v[26:27], v[16:17], v[26:27], s[14:15]
	;; [unrolled: 1-line block ×5, first 2 shown]
	s_mov_b32 s24, 0x555502a1
	v_fma_f64 v[26:27], v[16:17], v[26:27], s[22:23]
	s_mov_b32 s25, 0x3fa55555
	s_mov_b32 s26, 0x55555511
	v_fma_f64 v[26:27], v[16:17], v[26:27], s[24:25]
	s_mov_b32 s27, 0x3fc55555
	;; [unrolled: 3-line block ×3, first 2 shown]
	v_fma_f64 v[26:27], v[16:17], v[26:27], s[30:31]
	v_fma_f64 v[26:27], v[16:17], v[26:27], 1.0
	v_fma_f64 v[16:17], v[16:17], v[26:27], 1.0
	v_cvt_i32_f64_e32 v10, v[10:11]
	v_ldexp_f64 v[10:11], v[16:17], v10
	v_add_f64 v[10:11], v[10:11], 1.0
	v_div_scale_f64 v[16:17], s[0:1], v[10:11], v[10:11], 1.0
	v_rcp_f64_e32 v[26:27], v[16:17]
	s_mov_b32 s28, 0
	s_mov_b32 s29, 0x40900000
	;; [unrolled: 1-line block ×3, first 2 shown]
	v_fma_f64 v[28:29], -v[16:17], v[26:27], 1.0
	v_fmac_f64_e32 v[26:27], v[26:27], v[28:29]
	v_fma_f64 v[28:29], -v[16:17], v[26:27], 1.0
	v_fmac_f64_e32 v[26:27], v[26:27], v[28:29]
	v_div_scale_f64 v[28:29], vcc, 1.0, v[10:11], 1.0
	v_mul_f64 v[30:31], v[28:29], v[26:27]
	v_fma_f64 v[16:17], -v[16:17], v[30:31], v[28:29]
	s_mov_b32 s35, 0xc090cc00
	s_nop 0
	v_div_fmas_f64 v[16:17], v[16:17], v[26:27], v[30:31]
	v_div_fixup_f64 v[10:11], v[16:17], v[10:11], 1.0
	v_cmp_nlt_f64_e32 vcc, s[28:29], v[8:9]
	v_cndmask_b32_e32 v11, 0, v11, vcc
	v_cmp_ngt_f64_e64 s[0:1], s[34:35], v[8:9]
	v_mov_b32_e32 v22, 0x3ff00000
	s_and_b64 vcc, s[0:1], vcc
	v_cndmask_b32_e64 v9, v22, v11, s[0:1]
	s_mov_b32 s0, 0
	s_mov_b32 s1, 0x40180000
	v_cndmask_b32_e32 v8, 0, v10, vcc
	v_div_scale_f64 v[10:11], s[36:37], s[0:1], s[0:1], v[4:5]
	v_rcp_f64_e32 v[16:17], v[10:11]
	s_mov_b32 s37, 0x3feaaaaa
	s_mov_b32 s36, 0xaaaaaaab
	v_mov_b32_e32 v23, 0x7ff00000
	v_fma_f64 v[26:27], -v[10:11], v[16:17], 1.0
	v_fmac_f64_e32 v[16:17], v[16:17], v[26:27]
	v_fma_f64 v[26:27], -v[10:11], v[16:17], 1.0
	v_fmac_f64_e32 v[16:17], v[16:17], v[26:27]
	v_div_scale_f64 v[26:27], vcc, v[4:5], s[0:1], v[4:5]
	v_mul_f64 v[28:29], v[26:27], v[16:17]
	v_fma_f64 v[10:11], -v[10:11], v[28:29], v[26:27]
	s_nop 1
	v_div_fmas_f64 v[10:11], v[10:11], v[16:17], v[28:29]
	v_div_fixup_f64 v[56:57], v[10:11], s[0:1], v[4:5]
	v_add_f64 v[10:11], -v[56:57], s[36:37]
	v_mul_f64 v[16:17], v[10:11], s[2:3]
	v_rndne_f64_e32 v[16:17], v[16:17]
	v_fma_f64 v[26:27], s[4:5], v[16:17], v[10:11]
	v_fmac_f64_e32 v[26:27], s[6:7], v[16:17]
	v_fma_f64 v[28:29], s[8:9], v[26:27], v[6:7]
	v_fma_f64 v[28:29], v[26:27], v[28:29], s[14:15]
	;; [unrolled: 1-line block ×9, first 2 shown]
	v_fma_f64 v[28:29], v[26:27], v[28:29], 1.0
	v_fma_f64 v[26:27], v[26:27], v[28:29], 1.0
	v_cvt_i32_f64_e32 v16, v[16:17]
	v_ldexp_f64 v[16:17], v[26:27], v16
	v_add_f64 v[16:17], v[16:17], 1.0
	v_cmp_nlt_f64_e32 vcc, s[28:29], v[10:11]
	v_cndmask_b32_e32 v17, v23, v17, vcc
	v_cmp_ngt_f64_e64 s[0:1], s[34:35], v[10:11]
	s_and_b64 vcc, s[0:1], vcc
	v_cndmask_b32_e64 v11, v22, v17, s[0:1]
	s_mov_b32 s0, 0
	v_cndmask_b32_e32 v10, 0, v16, vcc
	s_brev_b32 s1, 8
	v_cmp_gt_f64_e32 vcc, s[0:1], v[10:11]
	v_cndmask_b32_e64 v16, 0, 1, vcc
	v_lshlrev_b32_e32 v16, 8, v16
	v_ldexp_f64 v[10:11], v[10:11], v16
	v_rsq_f64_e32 v[16:17], v[10:11]
	v_mov_b32_e32 v23, 0x260
	s_mov_b32 s0, 0
	s_mov_b32 s1, 0x4095e000
	v_mul_f64 v[26:27], v[10:11], v[16:17]
	v_mul_f64 v[16:17], v[16:17], 0.5
	v_fma_f64 v[28:29], -v[16:17], v[26:27], 0.5
	v_fmac_f64_e32 v[26:27], v[26:27], v[28:29]
	v_fma_f64 v[30:31], -v[26:27], v[26:27], v[10:11]
	v_fmac_f64_e32 v[16:17], v[16:17], v[28:29]
	v_fmac_f64_e32 v[26:27], v[30:31], v[16:17]
	v_fma_f64 v[28:29], -v[26:27], v[26:27], v[10:11]
	v_fmac_f64_e32 v[26:27], v[28:29], v[16:17]
	v_mov_b32_e32 v16, 0xffffff80
	v_cndmask_b32_e32 v16, 0, v16, vcc
	v_ldexp_f64 v[16:17], v[26:27], v16
	v_cmp_class_f64_e32 vcc, v[10:11], v23
	v_cndmask_b32_e32 v11, v17, v11, vcc
	v_cndmask_b32_e32 v10, v16, v10, vcc
	v_div_scale_f64 v[16:17], s[38:39], v[10:11], v[10:11], s[0:1]
	v_rcp_f64_e32 v[26:27], v[16:17]
	s_mov_b32 s37, 0xc002aaaa
	v_fma_f64 v[28:29], -v[16:17], v[26:27], 1.0
	v_fmac_f64_e32 v[26:27], v[26:27], v[28:29]
	v_fma_f64 v[28:29], -v[16:17], v[26:27], 1.0
	v_fmac_f64_e32 v[26:27], v[26:27], v[28:29]
	v_div_scale_f64 v[28:29], vcc, s[0:1], v[10:11], s[0:1]
	v_mul_f64 v[30:31], v[28:29], v[26:27]
	v_fma_f64 v[16:17], -v[16:17], v[30:31], v[28:29]
	s_nop 1
	v_div_fmas_f64 v[16:17], v[16:17], v[26:27], v[30:31]
	v_div_fixup_f64 v[10:11], v[16:17], v[10:11], s[0:1]
	s_mov_b32 s0, 0
	s_mov_b32 s1, 0x402e0000
	v_div_scale_f64 v[16:17], s[38:39], s[0:1], s[0:1], v[4:5]
	v_rcp_f64_e32 v[26:27], v[16:17]
	v_fma_f64 v[28:29], -v[16:17], v[26:27], 1.0
	v_fmac_f64_e32 v[26:27], v[26:27], v[28:29]
	v_fma_f64 v[28:29], -v[16:17], v[26:27], 1.0
	v_fmac_f64_e32 v[26:27], v[26:27], v[28:29]
	v_div_scale_f64 v[28:29], vcc, v[4:5], s[0:1], v[4:5]
	v_mul_f64 v[30:31], v[28:29], v[26:27]
	v_fma_f64 v[16:17], -v[16:17], v[30:31], v[28:29]
	s_nop 1
	v_div_fmas_f64 v[16:17], v[16:17], v[26:27], v[30:31]
	v_div_fixup_f64 v[16:17], v[16:17], s[0:1], v[4:5]
	v_add_f64 v[16:17], v[16:17], s[36:37]
	v_mul_f64 v[26:27], v[16:17], s[2:3]
	v_rndne_f64_e32 v[26:27], v[26:27]
	v_fma_f64 v[28:29], s[4:5], v[26:27], v[16:17]
	v_fmac_f64_e32 v[28:29], s[6:7], v[26:27]
	v_fmac_f64_e32 v[6:7], s[8:9], v[28:29]
	v_fma_f64 v[6:7], v[28:29], v[6:7], s[14:15]
	v_fma_f64 v[6:7], v[28:29], v[6:7], s[16:17]
	;; [unrolled: 1-line block ×8, first 2 shown]
	v_fma_f64 v[6:7], v[28:29], v[6:7], 1.0
	v_fma_f64 v[6:7], v[28:29], v[6:7], 1.0
	v_cvt_i32_f64_e32 v23, v[26:27]
	v_ldexp_f64 v[6:7], v[6:7], v23
	v_add_f64 v[6:7], v[6:7], 1.0
	v_div_scale_f64 v[26:27], s[0:1], v[6:7], v[6:7], 1.0
	v_rcp_f64_e32 v[28:29], v[26:27]
	v_cmp_ngt_f64_e64 s[0:1], s[34:35], v[16:17]
	v_fma_f64 v[30:31], -v[26:27], v[28:29], 1.0
	v_fmac_f64_e32 v[28:29], v[28:29], v[30:31]
	v_fma_f64 v[30:31], -v[26:27], v[28:29], 1.0
	v_fmac_f64_e32 v[28:29], v[28:29], v[30:31]
	v_div_scale_f64 v[30:31], vcc, 1.0, v[6:7], 1.0
	v_mul_f64 v[34:35], v[30:31], v[28:29]
	v_fma_f64 v[26:27], -v[26:27], v[34:35], v[30:31]
	s_nop 1
	v_div_fmas_f64 v[26:27], v[26:27], v[28:29], v[34:35]
	v_div_fixup_f64 v[6:7], v[26:27], v[6:7], 1.0
	v_cmp_nlt_f64_e32 vcc, s[28:29], v[16:17]
	v_cndmask_b32_e32 v7, 0, v7, vcc
	s_and_b64 vcc, s[0:1], vcc
	v_mov_b32_e32 v16, 0
	v_cndmask_b32_e32 v6, 0, v6, vcc
	v_cndmask_b32_e64 v7, v22, v7, s[0:1]
	v_mov_b32_e32 v17, 0x40540000
	v_fmac_f64_e32 v[16:17], v[6:7], v[10:11]
	buffer_load_dword v6, off, s[56:59], 0 offset:16 ; 4-byte Folded Reload
	buffer_load_dword v7, off, s[56:59], 0 offset:20 ; 4-byte Folded Reload
	s_waitcnt vmcnt(0)
	v_add_f64 v[6:7], v[8:9], -v[6:7]
	v_div_scale_f64 v[8:9], s[0:1], v[16:17], v[16:17], v[6:7]
	v_rcp_f64_e32 v[10:11], v[8:9]
	v_fma_f64 v[26:27], -v[8:9], v[10:11], 1.0
	v_fmac_f64_e32 v[10:11], v[10:11], v[26:27]
	v_fma_f64 v[26:27], -v[8:9], v[10:11], 1.0
	v_fmac_f64_e32 v[10:11], v[10:11], v[26:27]
	v_div_scale_f64 v[26:27], vcc, v[6:7], v[16:17], v[6:7]
	v_mul_f64 v[28:29], v[26:27], v[10:11]
	v_fma_f64 v[8:9], -v[8:9], v[28:29], v[26:27]
	s_nop 1
	v_div_fmas_f64 v[8:9], v[8:9], v[10:11], v[28:29]
	v_div_fixup_f64 v[6:7], v[8:9], v[16:17], v[6:7]
	v_div_scale_f64 v[8:9], s[0:1], v[16:17], v[16:17], -1.0
	v_rcp_f64_e32 v[10:11], v[8:9]
	s_mov_b32 s0, 0xe2308c3a
	s_mov_b32 s1, 0x3e45798e
	v_fma_f64 v[26:27], -v[8:9], v[10:11], 1.0
	v_fmac_f64_e32 v[10:11], v[10:11], v[26:27]
	v_fma_f64 v[26:27], -v[8:9], v[10:11], 1.0
	v_fmac_f64_e32 v[10:11], v[10:11], v[26:27]
	v_div_scale_f64 v[26:27], vcc, -1.0, v[16:17], -1.0
	v_mul_f64 v[28:29], v[26:27], v[10:11]
	v_fma_f64 v[8:9], -v[8:9], v[28:29], v[26:27]
                                        ; implicit-def: $vgpr26_vgpr27
	s_nop 1
	v_div_fmas_f64 v[8:9], v[8:9], v[10:11], v[28:29]
	v_div_fixup_f64 v[8:9], v[8:9], v[16:17], -1.0
	v_cmp_ngt_f64_e64 s[0:1], |v[8:9]|, s[0:1]
	s_and_saveexec_b64 s[2:3], s[0:1]
	s_xor_b64 s[0:1], exec, s[2:3]
; %bb.10:
	v_mul_f64 v[26:27], v[6:7], s[12:13]
                                        ; implicit-def: $vgpr8_vgpr9
                                        ; implicit-def: $vgpr6_vgpr7
; %bb.11:
	s_andn2_saveexec_b64 s[2:3], s[0:1]
	s_cbranch_execz .LBB0_13
; %bb.12:
	s_mov_b32 s0, 0x652b82fe
	v_mul_f64 v[10:11], v[8:9], s[12:13]
	s_mov_b32 s1, 0x3ff71547
	v_mul_f64 v[16:17], v[10:11], s[0:1]
	s_mov_b32 s0, 0xfefa39ef
	v_rndne_f64_e32 v[16:17], v[16:17]
	s_mov_b32 s1, 0xbfe62e42
	v_fma_f64 v[26:27], s[0:1], v[16:17], v[10:11]
	s_mov_b32 s0, 0x3b39803f
	s_mov_b32 s1, 0xbc7abc9e
	v_fmac_f64_e32 v[26:27], s[0:1], v[16:17]
	s_mov_b32 s0, 0x6a5dcb37
	v_mov_b32_e32 v28, 0xfca7ab0c
	v_mov_b32_e32 v29, 0x3e928af3
	s_mov_b32 s1, 0x3e5ade15
	v_fmac_f64_e32 v[28:29], s[0:1], v[26:27]
	v_mov_b32_e32 v30, 0x623fde64
	v_mov_b32_e32 v31, 0x3ec71dee
	v_fmac_f64_e32 v[30:31], v[26:27], v[28:29]
	v_mov_b32_e32 v28, 0x7c89e6b0
	v_mov_b32_e32 v29, 0x3efa0199
	;; [unrolled: 3-line block ×8, first 2 shown]
	v_fmac_f64_e32 v[28:29], v[26:27], v[30:31]
	s_mov_b32 s0, 0
	v_fma_f64 v[28:29], v[26:27], v[28:29], 1.0
	s_mov_b32 s1, 0x40900000
	v_fma_f64 v[26:27], v[26:27], v[28:29], 1.0
	v_cvt_i32_f64_e32 v16, v[16:17]
	v_cmp_nlt_f64_e32 vcc, s[0:1], v[10:11]
	s_mov_b32 s0, 0
	v_ldexp_f64 v[16:17], v[26:27], v16
	s_mov_b32 s1, 0xc090cc00
	v_add_f64 v[16:17], v[16:17], -1.0
	v_mov_b32_e32 v22, 0x7ff00000
	v_cmp_ngt_f64_e64 s[0:1], s[0:1], v[10:11]
	v_cndmask_b32_e32 v17, v22, v17, vcc
	v_mov_b32_e32 v22, 0xbff00000
	s_and_b64 vcc, s[0:1], vcc
	v_cndmask_b32_e64 v11, v22, v17, s[0:1]
	v_cndmask_b32_e32 v10, 0, v16, vcc
	v_mul_f64 v[6:7], v[6:7], v[10:11]
	v_div_scale_f64 v[10:11], s[0:1], v[8:9], v[8:9], v[6:7]
	v_rcp_f64_e32 v[16:17], v[10:11]
	v_fma_f64 v[26:27], -v[10:11], v[16:17], 1.0
	v_fmac_f64_e32 v[16:17], v[16:17], v[26:27]
	v_fma_f64 v[26:27], -v[10:11], v[16:17], 1.0
	v_fmac_f64_e32 v[16:17], v[16:17], v[26:27]
	v_div_scale_f64 v[26:27], vcc, v[6:7], v[8:9], v[6:7]
	v_mul_f64 v[28:29], v[26:27], v[16:17]
	v_fma_f64 v[10:11], -v[10:11], v[28:29], v[26:27]
	s_nop 1
	v_div_fmas_f64 v[10:11], v[10:11], v[16:17], v[28:29]
	v_div_fixup_f64 v[26:27], v[10:11], v[8:9], v[6:7]
.LBB0_13:
	s_or_b64 exec, exec, s[2:3]
	buffer_load_dword v6, off, s[56:59], 0 offset:16 ; 4-byte Folded Reload
	buffer_load_dword v7, off, s[56:59], 0 offset:20 ; 4-byte Folded Reload
	buffer_load_dword v0, off, s[56:59], 0 offset:376 ; 4-byte Folded Reload
	buffer_load_dword v1, off, s[56:59], 0 offset:380 ; 4-byte Folded Reload
	s_mov_b32 s0, 0xf8a106f3
	s_mov_b32 s1, 0xbfbc5995
	;; [unrolled: 1-line block ×14, first 2 shown]
	v_mov_b32_e32 v22, 0x3ff00000
	v_mov_b32_e32 v23, 0x9999999a
	s_waitcnt vmcnt(2)
	v_add_f64 v[6:7], v[6:7], v[26:27]
	s_waitcnt vmcnt(0)
	global_store_dwordx2 v[0:1], v[6:7], off
	v_mul_f64 v[0:1], v[4:5], s[0:1]
	v_mul_f64 v[6:7], v[0:1], s[2:3]
	v_rndne_f64_e32 v[8:9], v[6:7]
	s_mov_b32 s0, 0xfca7ab0c
	v_fma_f64 v[10:11], s[4:5], v[8:9], v[0:1]
	s_mov_b32 s1, 0x3e928af3
	v_fmac_f64_e32 v[10:11], s[6:7], v[8:9]
	v_pk_mov_b32 v[6:7], s[0:1], s[0:1] op_sel:[0,1]
	v_fma_f64 v[16:17], s[8:9], v[10:11], v[6:7]
	v_fma_f64 v[16:17], v[10:11], v[16:17], s[14:15]
	;; [unrolled: 1-line block ×9, first 2 shown]
	v_fma_f64 v[16:17], v[10:11], v[16:17], 1.0
	v_fma_f64 v[10:11], v[10:11], v[16:17], 1.0
	v_cvt_i32_f64_e32 v8, v[8:9]
	s_mov_b32 s0, 0x9f942391
	v_ldexp_f64 v[8:9], v[10:11], v8
	s_mov_b32 s1, 0x3f5e2ecb
	v_fma_f64 v[8:9], v[8:9], s[0:1], 1.0
	v_cmp_nlt_f64_e32 vcc, s[24:25], v[0:1]
	v_mov_b32_e32 v10, 0x7ff00000
	v_cmp_ngt_f64_e64 s[0:1], s[28:29], v[0:1]
	v_cndmask_b32_e32 v9, v10, v9, vcc
	s_and_b64 vcc, s[0:1], vcc
	v_cndmask_b32_e32 v0, 0, v8, vcc
	v_cndmask_b32_e64 v1, v22, v9, s[0:1]
	v_mul_f64 v[0:1], v[0:1], v[0:1]
	v_div_scale_f64 v[8:9], s[0:1], v[0:1], v[0:1], 1.0
	v_rcp_f64_e32 v[10:11], v[8:9]
	s_mov_b32 s0, 0
	s_mov_b32 s1, 0x40140000
	v_fma_f64 v[16:17], -v[8:9], v[10:11], 1.0
	v_fmac_f64_e32 v[10:11], v[10:11], v[16:17]
	v_fma_f64 v[16:17], -v[8:9], v[10:11], 1.0
	v_fmac_f64_e32 v[10:11], v[10:11], v[16:17]
	v_div_scale_f64 v[16:17], vcc, 1.0, v[0:1], 1.0
	v_mul_f64 v[26:27], v[16:17], v[10:11]
	v_fma_f64 v[8:9], -v[8:9], v[26:27], v[16:17]
	s_nop 1
	v_div_fmas_f64 v[8:9], v[8:9], v[10:11], v[26:27]
	v_div_fixup_f64 v[8:9], v[8:9], v[0:1], 1.0
	v_div_scale_f64 v[0:1], s[36:37], s[0:1], s[0:1], v[4:5]
	v_rcp_f64_e32 v[10:11], v[0:1]
	v_fma_f64 v[16:17], -v[0:1], v[10:11], 1.0
	v_fmac_f64_e32 v[10:11], v[10:11], v[16:17]
	v_fma_f64 v[16:17], -v[0:1], v[10:11], 1.0
	v_fmac_f64_e32 v[10:11], v[10:11], v[16:17]
	v_div_scale_f64 v[16:17], vcc, v[4:5], s[0:1], v[4:5]
	v_mul_f64 v[26:27], v[16:17], v[10:11]
	v_fma_f64 v[0:1], -v[0:1], v[26:27], v[16:17]
	s_nop 1
	v_div_fmas_f64 v[0:1], v[0:1], v[10:11], v[26:27]
	v_div_fixup_f64 v[0:1], v[0:1], s[0:1], v[4:5]
	s_mov_b32 s0, 0
	s_mov_b32 s1, 0xc0280000
	v_add_f64 v[10:11], -v[0:1], s[0:1]
	v_mul_f64 v[16:17], v[10:11], s[2:3]
	v_rndne_f64_e32 v[16:17], v[16:17]
	v_fma_f64 v[26:27], s[4:5], v[16:17], v[10:11]
	v_fmac_f64_e32 v[26:27], s[6:7], v[16:17]
	v_fma_f64 v[28:29], s[8:9], v[26:27], v[6:7]
	v_fma_f64 v[28:29], v[26:27], v[28:29], s[14:15]
	v_fma_f64 v[28:29], v[26:27], v[28:29], s[16:17]
	v_fma_f64 v[28:29], v[26:27], v[28:29], s[18:19]
	v_fma_f64 v[28:29], v[26:27], v[28:29], s[20:21]
	v_fma_f64 v[28:29], v[26:27], v[28:29], s[22:23]
	v_fma_f64 v[28:29], v[26:27], v[28:29], s[26:27]
	v_fma_f64 v[28:29], v[26:27], v[28:29], s[30:31]
	v_fma_f64 v[28:29], v[26:27], v[28:29], s[34:35]
	v_fma_f64 v[28:29], v[26:27], v[28:29], 1.0
	v_fma_f64 v[26:27], v[26:27], v[28:29], 1.0
	v_cvt_i32_f64_e32 v16, v[16:17]
	v_ldexp_f64 v[16:17], v[26:27], v16
	v_add_f64 v[16:17], v[16:17], 1.0
	v_div_scale_f64 v[26:27], s[0:1], v[16:17], v[16:17], 1.0
	v_rcp_f64_e32 v[28:29], v[26:27]
	v_cmp_ngt_f64_e64 s[0:1], s[28:29], v[10:11]
	v_fma_f64 v[30:31], -v[26:27], v[28:29], 1.0
	v_fmac_f64_e32 v[28:29], v[28:29], v[30:31]
	v_fma_f64 v[30:31], -v[26:27], v[28:29], 1.0
	v_fmac_f64_e32 v[28:29], v[28:29], v[30:31]
	v_div_scale_f64 v[30:31], vcc, 1.0, v[16:17], 1.0
	v_mul_f64 v[34:35], v[30:31], v[28:29]
	v_fma_f64 v[26:27], -v[26:27], v[34:35], v[30:31]
	s_nop 1
	v_div_fmas_f64 v[26:27], v[26:27], v[28:29], v[34:35]
	v_div_fixup_f64 v[16:17], v[26:27], v[16:17], 1.0
	v_cmp_nlt_f64_e32 vcc, s[24:25], v[10:11]
	v_cndmask_b32_e32 v17, 0, v17, vcc
	s_and_b64 vcc, s[0:1], vcc
	v_cndmask_b32_e64 v27, v22, v17, s[0:1]
	s_mov_b32 s0, 0
	s_mov_b32 s1, 0x401c0000
	v_add_f64 v[10:11], v[0:1], s[0:1]
	v_cndmask_b32_e32 v26, 0, v16, vcc
	v_mul_f64 v[16:17], v[10:11], s[2:3]
	v_rndne_f64_e32 v[16:17], v[16:17]
	v_fma_f64 v[28:29], s[4:5], v[16:17], v[10:11]
	v_fmac_f64_e32 v[28:29], s[6:7], v[16:17]
	v_fma_f64 v[30:31], s[8:9], v[28:29], v[6:7]
	v_fma_f64 v[30:31], v[28:29], v[30:31], s[14:15]
	;; [unrolled: 1-line block ×9, first 2 shown]
	v_fma_f64 v[30:31], v[28:29], v[30:31], 1.0
	v_fma_f64 v[28:29], v[28:29], v[30:31], 1.0
	v_cvt_i32_f64_e32 v16, v[16:17]
	v_ldexp_f64 v[16:17], v[28:29], v16
	s_mov_b32 s0, 0x9999999a
	v_add_f64 v[16:17], v[16:17], 1.0
	s_mov_b32 s1, 0x3fb99999
	v_div_scale_f64 v[28:29], s[36:37], v[16:17], v[16:17], s[0:1]
	v_rcp_f64_e32 v[30:31], v[28:29]
	s_mov_b32 s36, 0
	v_mov_b32_e32 v22, 0x3fb99999
	s_mov_b32 s37, 0x40690000
	v_fma_f64 v[34:35], -v[28:29], v[30:31], 1.0
	v_fmac_f64_e32 v[30:31], v[30:31], v[34:35]
	v_fma_f64 v[34:35], -v[28:29], v[30:31], 1.0
	v_fmac_f64_e32 v[30:31], v[30:31], v[34:35]
	v_div_scale_f64 v[34:35], vcc, s[0:1], v[16:17], s[0:1]
	v_mul_f64 v[38:39], v[34:35], v[30:31]
	v_fma_f64 v[28:29], -v[28:29], v[38:39], v[34:35]
	s_nop 1
	v_div_fmas_f64 v[28:29], v[28:29], v[30:31], v[38:39]
	v_div_fixup_f64 v[16:17], v[28:29], v[16:17], s[0:1]
	v_cmp_nlt_f64_e32 vcc, s[24:25], v[10:11]
	v_cndmask_b32_e32 v16, 0, v16, vcc
	v_cndmask_b32_e32 v17, 0, v17, vcc
	v_cmp_ngt_f64_e32 vcc, s[28:29], v[10:11]
	v_cndmask_b32_e32 v11, v22, v17, vcc
	v_cndmask_b32_e32 v10, v23, v16, vcc
	v_div_scale_f64 v[16:17], s[38:39], s[36:37], s[36:37], v[4:5]
	v_rcp_f64_e32 v[28:29], v[16:17]
	v_fma_f64 v[30:31], -v[16:17], v[28:29], 1.0
	v_fmac_f64_e32 v[28:29], v[28:29], v[30:31]
	v_fma_f64 v[30:31], -v[16:17], v[28:29], 1.0
	v_fmac_f64_e32 v[28:29], v[28:29], v[30:31]
	v_div_scale_f64 v[30:31], vcc, v[4:5], s[36:37], v[4:5]
	v_mul_f64 v[34:35], v[30:31], v[28:29]
	v_fma_f64 v[16:17], -v[16:17], v[34:35], v[30:31]
	s_nop 1
	v_div_fmas_f64 v[16:17], v[16:17], v[28:29], v[34:35]
	v_div_fixup_f64 v[16:17], v[16:17], s[36:37], v[4:5]
	s_mov_b32 s36, 0
	s_mov_b32 s37, 0xbfd00000
	v_add_f64 v[16:17], v[16:17], s[36:37]
	v_mul_f64 v[28:29], v[16:17], s[2:3]
	v_rndne_f64_e32 v[28:29], v[28:29]
	v_fma_f64 v[30:31], s[4:5], v[28:29], v[16:17]
	v_fmac_f64_e32 v[30:31], s[6:7], v[28:29]
	v_fmac_f64_e32 v[6:7], s[8:9], v[30:31]
	v_fma_f64 v[6:7], v[30:31], v[6:7], s[14:15]
	v_fma_f64 v[6:7], v[30:31], v[6:7], s[16:17]
	;; [unrolled: 1-line block ×8, first 2 shown]
	v_fma_f64 v[6:7], v[30:31], v[6:7], 1.0
	v_fma_f64 v[6:7], v[30:31], v[6:7], 1.0
	v_cvt_i32_f64_e32 v28, v[28:29]
	v_ldexp_f64 v[6:7], v[6:7], v28
	v_add_f64 v[6:7], v[6:7], 1.0
	v_div_scale_f64 v[28:29], s[2:3], v[6:7], v[6:7], s[0:1]
	v_rcp_f64_e32 v[30:31], v[28:29]
	v_fma_f64 v[34:35], -v[28:29], v[30:31], 1.0
	v_fmac_f64_e32 v[30:31], v[30:31], v[34:35]
	v_fma_f64 v[34:35], -v[28:29], v[30:31], 1.0
	v_fmac_f64_e32 v[30:31], v[30:31], v[34:35]
	v_div_scale_f64 v[34:35], vcc, s[0:1], v[6:7], s[0:1]
	v_mul_f64 v[38:39], v[34:35], v[30:31]
	v_fma_f64 v[28:29], -v[28:29], v[38:39], v[34:35]
	s_nop 1
	v_div_fmas_f64 v[28:29], v[28:29], v[30:31], v[38:39]
	v_div_fixup_f64 v[6:7], v[28:29], v[6:7], s[0:1]
	v_cmp_nlt_f64_e32 vcc, s[24:25], v[16:17]
	v_cndmask_b32_e32 v6, 0, v6, vcc
	v_cndmask_b32_e32 v7, 0, v7, vcc
	v_cmp_ngt_f64_e32 vcc, s[28:29], v[16:17]
	v_cndmask_b32_e32 v7, v22, v7, vcc
	v_cndmask_b32_e32 v6, v23, v6, vcc
	v_add_f64 v[6:7], v[10:11], v[6:7]
	v_mul_f64 v[10:11], v[26:27], v[6:7]
	buffer_load_dword v6, off, s[56:59], 0 offset:48 ; 4-byte Folded Reload
	buffer_load_dword v7, off, s[56:59], 0 offset:52 ; 4-byte Folded Reload
	s_waitcnt vmcnt(0)
	v_add_f64 v[6:7], v[8:9], -v[6:7]
	v_div_scale_f64 v[8:9], s[0:1], v[10:11], v[10:11], v[6:7]
	v_rcp_f64_e32 v[16:17], v[8:9]
	v_fma_f64 v[26:27], -v[8:9], v[16:17], 1.0
	v_fmac_f64_e32 v[16:17], v[16:17], v[26:27]
	v_fma_f64 v[26:27], -v[8:9], v[16:17], 1.0
	v_fmac_f64_e32 v[16:17], v[16:17], v[26:27]
	v_div_scale_f64 v[26:27], vcc, v[6:7], v[10:11], v[6:7]
	v_mul_f64 v[28:29], v[26:27], v[16:17]
	v_fma_f64 v[8:9], -v[8:9], v[28:29], v[26:27]
	s_nop 1
	v_div_fmas_f64 v[8:9], v[8:9], v[16:17], v[28:29]
	v_div_fixup_f64 v[6:7], v[8:9], v[10:11], v[6:7]
	v_div_scale_f64 v[8:9], s[0:1], v[10:11], v[10:11], -1.0
	v_rcp_f64_e32 v[16:17], v[8:9]
	s_mov_b32 s0, 0xe2308c3a
	s_mov_b32 s1, 0x3e45798e
	v_fma_f64 v[26:27], -v[8:9], v[16:17], 1.0
	v_fmac_f64_e32 v[16:17], v[16:17], v[26:27]
	v_fma_f64 v[26:27], -v[8:9], v[16:17], 1.0
	v_fmac_f64_e32 v[16:17], v[16:17], v[26:27]
	v_div_scale_f64 v[26:27], vcc, -1.0, v[10:11], -1.0
	v_mul_f64 v[28:29], v[26:27], v[16:17]
	v_fma_f64 v[8:9], -v[8:9], v[28:29], v[26:27]
                                        ; implicit-def: $vgpr26_vgpr27
	s_nop 1
	v_div_fmas_f64 v[8:9], v[8:9], v[16:17], v[28:29]
	v_div_fixup_f64 v[8:9], v[8:9], v[10:11], -1.0
	v_cmp_ngt_f64_e64 s[0:1], |v[8:9]|, s[0:1]
	s_and_saveexec_b64 s[2:3], s[0:1]
	s_xor_b64 s[0:1], exec, s[2:3]
; %bb.14:
	v_mul_f64 v[26:27], v[6:7], s[12:13]
                                        ; implicit-def: $vgpr8_vgpr9
                                        ; implicit-def: $vgpr6_vgpr7
; %bb.15:
	s_andn2_saveexec_b64 s[2:3], s[0:1]
	s_cbranch_execz .LBB0_17
; %bb.16:
	s_mov_b32 s0, 0x652b82fe
	v_mul_f64 v[10:11], v[8:9], s[12:13]
	s_mov_b32 s1, 0x3ff71547
	v_mul_f64 v[16:17], v[10:11], s[0:1]
	s_mov_b32 s0, 0xfefa39ef
	v_rndne_f64_e32 v[16:17], v[16:17]
	s_mov_b32 s1, 0xbfe62e42
	v_fma_f64 v[26:27], s[0:1], v[16:17], v[10:11]
	s_mov_b32 s0, 0x3b39803f
	s_mov_b32 s1, 0xbc7abc9e
	v_fmac_f64_e32 v[26:27], s[0:1], v[16:17]
	s_mov_b32 s0, 0x6a5dcb37
	v_mov_b32_e32 v28, 0xfca7ab0c
	v_mov_b32_e32 v29, 0x3e928af3
	s_mov_b32 s1, 0x3e5ade15
	v_fmac_f64_e32 v[28:29], s[0:1], v[26:27]
	v_mov_b32_e32 v30, 0x623fde64
	v_mov_b32_e32 v31, 0x3ec71dee
	v_fmac_f64_e32 v[30:31], v[26:27], v[28:29]
	v_mov_b32_e32 v28, 0x7c89e6b0
	v_mov_b32_e32 v29, 0x3efa0199
	;; [unrolled: 3-line block ×8, first 2 shown]
	v_fmac_f64_e32 v[28:29], v[26:27], v[30:31]
	s_mov_b32 s0, 0
	v_fma_f64 v[28:29], v[26:27], v[28:29], 1.0
	s_mov_b32 s1, 0x40900000
	v_fma_f64 v[26:27], v[26:27], v[28:29], 1.0
	v_cvt_i32_f64_e32 v16, v[16:17]
	v_cmp_nlt_f64_e32 vcc, s[0:1], v[10:11]
	s_mov_b32 s0, 0
	v_ldexp_f64 v[16:17], v[26:27], v16
	s_mov_b32 s1, 0xc090cc00
	v_add_f64 v[16:17], v[16:17], -1.0
	v_mov_b32_e32 v22, 0x7ff00000
	v_cmp_ngt_f64_e64 s[0:1], s[0:1], v[10:11]
	v_cndmask_b32_e32 v17, v22, v17, vcc
	v_mov_b32_e32 v22, 0xbff00000
	s_and_b64 vcc, s[0:1], vcc
	v_cndmask_b32_e64 v11, v22, v17, s[0:1]
	v_cndmask_b32_e32 v10, 0, v16, vcc
	v_mul_f64 v[6:7], v[6:7], v[10:11]
	v_div_scale_f64 v[10:11], s[0:1], v[8:9], v[8:9], v[6:7]
	v_rcp_f64_e32 v[16:17], v[10:11]
	v_fma_f64 v[26:27], -v[10:11], v[16:17], 1.0
	v_fmac_f64_e32 v[16:17], v[16:17], v[26:27]
	v_fma_f64 v[26:27], -v[10:11], v[16:17], 1.0
	v_fmac_f64_e32 v[16:17], v[16:17], v[26:27]
	v_div_scale_f64 v[26:27], vcc, v[6:7], v[8:9], v[6:7]
	v_mul_f64 v[28:29], v[26:27], v[16:17]
	v_fma_f64 v[10:11], -v[10:11], v[28:29], v[26:27]
	s_nop 1
	v_div_fmas_f64 v[10:11], v[10:11], v[16:17], v[28:29]
	v_div_fixup_f64 v[26:27], v[10:11], v[8:9], v[6:7]
.LBB0_17:
	s_or_b64 exec, exec, s[2:3]
	buffer_load_dword v6, off, s[56:59], 0 offset:48 ; 4-byte Folded Reload
	buffer_load_dword v7, off, s[56:59], 0 offset:52 ; 4-byte Folded Reload
	;; [unrolled: 1-line block ×4, first 2 shown]
	s_mov_b32 s0, 0
	s_mov_b32 s1, 0xc0440000
	v_cmp_ngt_f64_e32 vcc, s[0:1], v[4:5]
	v_cmp_gt_f64_e64 s[0:1], s[0:1], v[4:5]
	v_pk_mov_b32 v[46:47], 0, 0
	s_waitcnt vmcnt(2)
	v_add_f64 v[6:7], v[6:7], v[26:27]
	s_waitcnt vmcnt(0)
	global_store_dwordx2 v[8:9], v[6:7], off
	s_and_saveexec_b64 s[6:7], s[0:1]
	s_cbranch_execz .LBB0_19
; %bb.18:
	s_mov_b32 s2, 0xd2d2d2db
	s_mov_b32 s3, 0xbfc2d2d2
	v_mul_f64 v[6:7], v[4:5], s[2:3]
	s_mov_b32 s2, 0x652b82fe
	s_mov_b32 s3, 0x3ff71547
	v_mul_f64 v[8:9], v[6:7], s[2:3]
	s_mov_b32 s2, 0xfefa39ef
	v_rndne_f64_e32 v[8:9], v[8:9]
	s_mov_b32 s3, 0xbfe62e42
	v_fma_f64 v[10:11], s[2:3], v[8:9], v[6:7]
	s_mov_b32 s2, 0x3b39803f
	s_mov_b32 s3, 0xbc7abc9e
	v_fmac_f64_e32 v[10:11], s[2:3], v[8:9]
	s_mov_b32 s2, 0x6a5dcb37
	v_mov_b32_e32 v16, 0xfca7ab0c
	v_mov_b32_e32 v17, 0x3e928af3
	s_mov_b32 s3, 0x3e5ade15
	v_fmac_f64_e32 v[16:17], s[2:3], v[10:11]
	v_mov_b32_e32 v26, 0x623fde64
	v_mov_b32_e32 v27, 0x3ec71dee
	v_fmac_f64_e32 v[26:27], v[10:11], v[16:17]
	v_mov_b32_e32 v16, 0x7c89e6b0
	v_mov_b32_e32 v17, 0x3efa0199
	;; [unrolled: 3-line block ×8, first 2 shown]
	v_fmac_f64_e32 v[16:17], v[10:11], v[26:27]
	v_fma_f64 v[16:17], v[10:11], v[16:17], 1.0
	v_fma_f64 v[10:11], v[10:11], v[16:17], 1.0
	v_cvt_i32_f64_e32 v8, v[8:9]
	s_mov_b32 s2, 0x3ee93363
	v_ldexp_f64 v[8:9], v[10:11], v8
	s_mov_b32 s3, 0x3e9dbcdc
	v_mul_f64 v[8:9], v[8:9], s[2:3]
	s_mov_b32 s2, 0
	s_mov_b32 s4, 0
	;; [unrolled: 1-line block ×4, first 2 shown]
	v_mov_b32_e32 v10, 0x7ff00000
	v_cmp_nlt_f64_e64 s[2:3], s[2:3], v[6:7]
	v_cmp_ngt_f64_e64 s[4:5], s[4:5], v[6:7]
	v_cndmask_b32_e64 v9, v10, v9, s[2:3]
	s_and_b64 s[2:3], s[4:5], s[2:3]
	v_cndmask_b32_e64 v47, 0, v9, s[4:5]
	v_cndmask_b32_e64 v46, 0, v8, s[2:3]
.LBB0_19:
	s_or_b64 exec, exec, s[6:7]
                                        ; implicit-def: $vgpr8_vgpr9
	s_and_saveexec_b64 s[2:3], vcc
	s_xor_b64 s[2:3], exec, s[2:3]
	s_cbranch_execz .LBB0_21
; %bb.20:
	s_mov_b32 s4, 0xe6a17103
	s_mov_b32 s5, 0xbfb71024
	v_mul_f64 v[6:7], v[4:5], s[4:5]
	s_mov_b32 s4, 0x652b82fe
	s_mov_b32 s5, 0x3ff71547
	v_mul_f64 v[8:9], v[6:7], s[4:5]
	s_mov_b32 s4, 0xfefa39ef
	v_rndne_f64_e32 v[8:9], v[8:9]
	s_mov_b32 s5, 0xbfe62e42
	v_fma_f64 v[10:11], s[4:5], v[8:9], v[6:7]
	s_mov_b32 s4, 0x3b39803f
	s_mov_b32 s5, 0xbc7abc9e
	v_fmac_f64_e32 v[10:11], s[4:5], v[8:9]
	s_mov_b32 s4, 0x6a5dcb37
	v_mov_b32_e32 v16, 0xfca7ab0c
	v_mov_b32_e32 v17, 0x3e928af3
	s_mov_b32 s5, 0x3e5ade15
	v_fmac_f64_e32 v[16:17], s[4:5], v[10:11]
	v_mov_b32_e32 v26, 0x623fde64
	v_mov_b32_e32 v27, 0x3ec71dee
	v_fmac_f64_e32 v[26:27], v[10:11], v[16:17]
	v_mov_b32_e32 v16, 0x7c89e6b0
	v_mov_b32_e32 v17, 0x3efa0199
	v_fmac_f64_e32 v[16:17], v[10:11], v[26:27]
	v_mov_b32_e32 v26, 0x14761f6e
	v_mov_b32_e32 v27, 0x3f2a01a0
	v_fmac_f64_e32 v[26:27], v[10:11], v[16:17]
	v_mov_b32_e32 v16, 0x1852b7b0
	v_mov_b32_e32 v17, 0x3f56c16c
	v_fmac_f64_e32 v[16:17], v[10:11], v[26:27]
	v_mov_b32_e32 v26, 0x11122322
	v_mov_b32_e32 v27, 0x3f811111
	v_fmac_f64_e32 v[26:27], v[10:11], v[16:17]
	v_mov_b32_e32 v16, 0x555502a1
	v_mov_b32_e32 v17, 0x3fa55555
	v_fmac_f64_e32 v[16:17], v[10:11], v[26:27]
	v_mov_b32_e32 v26, 0x55555511
	v_mov_b32_e32 v27, 0x3fc55555
	v_fmac_f64_e32 v[26:27], v[10:11], v[16:17]
	v_mov_b32_e32 v16, 11
	v_mov_b32_e32 v17, 0x3fe00000
	v_fmac_f64_e32 v[16:17], v[10:11], v[26:27]
	v_fma_f64 v[16:17], v[10:11], v[16:17], 1.0
	v_fma_f64 v[10:11], v[10:11], v[16:17], 1.0
	v_cvt_i32_f64_e32 v8, v[8:9]
	s_mov_b32 s6, 0x29549e5d
	v_ldexp_f64 v[8:9], v[10:11], v8
	s_mov_b32 s4, 0xa3d70a4
	v_mov_b32_e32 v10, 0xa3d70a4
	v_mov_b32_e32 v11, 0x3fc0a3d7
	s_mov_b32 s7, 0x3fa979e6
	s_mov_b32 s5, 0x3fe8a3d7
	v_fmac_f64_e32 v[10:11], s[6:7], v[8:9]
	v_div_scale_f64 v[8:9], s[6:7], v[10:11], v[10:11], s[4:5]
	v_rcp_f64_e32 v[16:17], v[8:9]
	v_fma_f64 v[26:27], -v[8:9], v[16:17], 1.0
	v_fmac_f64_e32 v[16:17], v[16:17], v[26:27]
	v_fma_f64 v[26:27], -v[8:9], v[16:17], 1.0
	v_fmac_f64_e32 v[16:17], v[16:17], v[26:27]
	v_div_scale_f64 v[26:27], vcc, s[4:5], v[10:11], s[4:5]
	v_mul_f64 v[28:29], v[26:27], v[16:17]
	v_fma_f64 v[8:9], -v[8:9], v[28:29], v[26:27]
	s_nop 1
	v_div_fmas_f64 v[8:9], v[8:9], v[16:17], v[28:29]
	v_div_fixup_f64 v[8:9], v[8:9], v[10:11], s[4:5]
	s_mov_b32 s4, 0
	s_mov_b32 s5, 0x40900000
	v_cmp_nlt_f64_e32 vcc, s[4:5], v[6:7]
	s_mov_b32 s4, 0
	s_mov_b32 s5, 0xc090cc00
	v_cndmask_b32_e32 v8, 0, v8, vcc
	v_cndmask_b32_e32 v9, 0, v9, vcc
	v_mov_b32_e32 v10, 0x4017b13b
	v_cmp_ngt_f64_e32 vcc, s[4:5], v[6:7]
	v_mov_b32_e32 v6, 0x13b13b14
	v_cndmask_b32_e32 v9, v10, v9, vcc
	v_cndmask_b32_e32 v8, v6, v8, vcc
	s_andn2_saveexec_b64 s[4:5], s[2:3]
	s_cbranch_execnz .LBB0_22
	s_branch .LBB0_23
.LBB0_21:
	s_andn2_saveexec_b64 s[4:5], s[2:3]
	s_cbranch_execz .LBB0_23
.LBB0_22:
	s_mov_b32 s2, 0xf1a9fbe7
	s_mov_b32 s3, 0x3fd64dd2
	;; [unrolled: 1-line block ×3, first 2 shown]
	v_mul_f64 v[6:7], v[4:5], s[2:3]
	s_mov_b32 s7, 0x3ff71547
	v_mul_f64 v[8:9], v[6:7], s[6:7]
	s_mov_b32 s8, 0xfefa39ef
	v_rndne_f64_e32 v[8:9], v[8:9]
	s_mov_b32 s9, 0xbfe62e42
	s_mov_b32 s14, 0x3b39803f
	;; [unrolled: 1-line block ×3, first 2 shown]
	v_fma_f64 v[10:11], s[8:9], v[8:9], v[6:7]
	s_mov_b32 s15, 0xbc7abc9e
	s_mov_b32 s3, 0x3e928af3
	;; [unrolled: 1-line block ×3, first 2 shown]
	v_fmac_f64_e32 v[10:11], s[14:15], v[8:9]
	s_mov_b32 s17, 0x3e5ade15
	v_pk_mov_b32 v[16:17], s[2:3], s[2:3] op_sel:[0,1]
	s_mov_b32 s18, 0x623fde64
	v_fma_f64 v[26:27], s[16:17], v[10:11], v[16:17]
	s_mov_b32 s19, 0x3ec71dee
	s_mov_b32 s20, 0x7c89e6b0
	v_fma_f64 v[26:27], v[10:11], v[26:27], s[18:19]
	s_mov_b32 s21, 0x3efa0199
	;; [unrolled: 3-line block ×6, first 2 shown]
	v_fma_f64 v[26:27], v[10:11], v[26:27], s[28:29]
	v_fma_f64 v[26:27], v[10:11], v[26:27], s[30:31]
	;; [unrolled: 1-line block ×3, first 2 shown]
	v_fma_f64 v[26:27], v[10:11], v[26:27], 1.0
	v_fma_f64 v[10:11], v[10:11], v[26:27], 1.0
	v_cvt_i32_f64_e32 v8, v[8:9]
	s_mov_b32 s2, 0
	s_mov_b32 s36, 0
	v_ldexp_f64 v[8:9], v[10:11], v8
	s_mov_b32 s3, 0x4112ebc0
	s_mov_b32 s37, 0x40900000
	;; [unrolled: 1-line block ×3, first 2 shown]
	v_mul_f64 v[8:9], v[8:9], s[2:3]
	v_mov_b32_e32 v22, 0x7ff00000
	v_cmp_nlt_f64_e32 vcc, s[36:37], v[6:7]
	s_mov_b32 s39, 0xc090cc00
	v_cndmask_b32_e32 v9, v22, v9, vcc
	v_cmp_ngt_f64_e64 s[2:3], s[38:39], v[6:7]
	v_cndmask_b32_e64 v7, 0, v9, s[2:3]
	s_and_b64 vcc, s[2:3], vcc
	s_mov_b32 s2, 0x10624dd3
	s_mov_b32 s3, 0x3fb43958
	v_cndmask_b32_e32 v6, 0, v8, vcc
	v_mul_f64 v[8:9], v[4:5], s[2:3]
	v_mul_f64 v[10:11], v[8:9], s[6:7]
	v_rndne_f64_e32 v[10:11], v[10:11]
	v_fma_f64 v[26:27], s[8:9], v[10:11], v[8:9]
	v_fmac_f64_e32 v[26:27], s[14:15], v[10:11]
	v_fmac_f64_e32 v[16:17], s[16:17], v[26:27]
	v_fma_f64 v[16:17], v[26:27], v[16:17], s[18:19]
	v_fma_f64 v[16:17], v[26:27], v[16:17], s[20:21]
	;; [unrolled: 1-line block ×8, first 2 shown]
	v_fma_f64 v[16:17], v[26:27], v[16:17], 1.0
	v_fma_f64 v[16:17], v[26:27], v[16:17], 1.0
	v_cvt_i32_f64_e32 v10, v[10:11]
	s_mov_b32 s2, 0x9999999a
	v_ldexp_f64 v[10:11], v[16:17], v10
	s_mov_b32 s3, 0x40059999
	v_mul_f64 v[10:11], v[10:11], s[2:3]
	v_cmp_nlt_f64_e32 vcc, s[36:37], v[8:9]
	v_cmp_ngt_f64_e64 s[2:3], s[38:39], v[8:9]
	v_cndmask_b32_e32 v11, v22, v11, vcc
	s_and_b64 vcc, s[2:3], vcc
	v_cndmask_b32_e64 v9, 0, v11, s[2:3]
	v_cndmask_b32_e32 v8, 0, v10, vcc
	v_add_f64 v[8:9], v[6:7], v[8:9]
.LBB0_23:
	s_or_b64 exec, exec, s[4:5]
	s_mov_b32 s2, 0x92c72650
	s_mov_b32 s3, 0x3fc13a3a
	v_mul_f64 v[6:7], v[4:5], s[2:3]
	s_mov_b32 s2, 0x652b82fe
	s_mov_b32 s3, 0x3ff71547
	v_mul_f64 v[10:11], v[6:7], s[2:3]
	s_mov_b32 s2, 0xfefa39ef
	v_rndne_f64_e32 v[10:11], v[10:11]
	s_mov_b32 s3, 0xbfe62e42
	v_fma_f64 v[16:17], s[2:3], v[10:11], v[6:7]
	s_mov_b32 s2, 0x3b39803f
	s_mov_b32 s3, 0xbc7abc9e
	v_fmac_f64_e32 v[16:17], s[2:3], v[10:11]
	s_mov_b32 s2, 0x6a5dcb37
	v_mov_b32_e32 v26, 0xfca7ab0c
	v_mov_b32_e32 v27, 0x3e928af3
	s_mov_b32 s3, 0x3e5ade15
	v_fmac_f64_e32 v[26:27], s[2:3], v[16:17]
	v_mov_b32_e32 v28, 0x623fde64
	v_mov_b32_e32 v29, 0x3ec71dee
	v_fmac_f64_e32 v[28:29], v[16:17], v[26:27]
	v_mov_b32_e32 v26, 0x7c89e6b0
	v_mov_b32_e32 v27, 0x3efa0199
	;; [unrolled: 3-line block ×8, first 2 shown]
	v_fmac_f64_e32 v[26:27], v[16:17], v[28:29]
	v_fma_f64 v[26:27], v[16:17], v[26:27], 1.0
	v_fma_f64 v[16:17], v[16:17], v[26:27], 1.0
	v_cvt_i32_f64_e32 v10, v[10:11]
	s_mov_b32 s2, 0xf0c8c96b
	v_ldexp_f64 v[10:11], v[16:17], v10
	s_mov_b32 s3, 0x40cdb64b
	v_fma_f64 v[10:11], v[10:11], s[2:3], 1.0
	s_mov_b32 s2, 0
	s_mov_b32 s3, 0x40900000
	v_cmp_nlt_f64_e32 vcc, s[2:3], v[6:7]
	s_mov_b32 s2, 0
	s_mov_b32 s3, 0xc090cc00
	v_mov_b32_e32 v16, 0x7ff00000
	v_cmp_ngt_f64_e64 s[2:3], s[2:3], v[6:7]
	v_cndmask_b32_e32 v11, v16, v11, vcc
	s_and_b64 vcc, s[2:3], vcc
	v_mov_b32_e32 v7, 0x3ff00000
	v_cndmask_b32_e32 v6, 0, v10, vcc
	v_cndmask_b32_e64 v7, v7, v11, s[2:3]
	v_mul_f64 v[6:7], v[6:7], v[6:7]
	v_div_scale_f64 v[10:11], s[2:3], v[6:7], v[6:7], 1.0
	v_rcp_f64_e32 v[16:17], v[10:11]
	v_add_f64 v[8:9], v[46:47], v[8:9]
                                        ; implicit-def: $vgpr46_vgpr47
	v_fma_f64 v[26:27], -v[10:11], v[16:17], 1.0
	v_fmac_f64_e32 v[16:17], v[16:17], v[26:27]
	v_fma_f64 v[26:27], -v[10:11], v[16:17], 1.0
	v_fmac_f64_e32 v[16:17], v[16:17], v[26:27]
	v_div_scale_f64 v[26:27], vcc, 1.0, v[6:7], 1.0
	v_mul_f64 v[28:29], v[26:27], v[16:17]
	v_fma_f64 v[10:11], -v[10:11], v[28:29], v[26:27]
	s_nop 1
	v_div_fmas_f64 v[10:11], v[10:11], v[16:17], v[28:29]
	v_div_fixup_f64 v[6:7], v[10:11], v[6:7], 1.0
	v_div_scale_f64 v[10:11], s[2:3], v[8:9], v[8:9], 1.0
	v_rcp_f64_e32 v[16:17], v[10:11]
	v_fma_f64 v[26:27], -v[10:11], v[16:17], 1.0
	v_fmac_f64_e32 v[16:17], v[16:17], v[26:27]
	v_fma_f64 v[26:27], -v[10:11], v[16:17], 1.0
	v_fmac_f64_e32 v[16:17], v[16:17], v[26:27]
	v_div_scale_f64 v[26:27], vcc, 1.0, v[8:9], 1.0
	v_mul_f64 v[28:29], v[26:27], v[16:17]
	v_fma_f64 v[10:11], -v[10:11], v[28:29], v[26:27]
	s_nop 1
	v_div_fmas_f64 v[10:11], v[10:11], v[16:17], v[28:29]
	v_div_fixup_f64 v[10:11], v[10:11], v[8:9], 1.0
	v_add_f64 v[8:9], v[6:7], -v[90:91]
	v_div_scale_f64 v[16:17], s[2:3], v[10:11], v[10:11], v[8:9]
	v_rcp_f64_e32 v[26:27], v[16:17]
	v_fma_f64 v[28:29], -v[16:17], v[26:27], 1.0
	v_fmac_f64_e32 v[26:27], v[26:27], v[28:29]
	v_fma_f64 v[28:29], -v[16:17], v[26:27], 1.0
	v_fmac_f64_e32 v[26:27], v[26:27], v[28:29]
	v_div_scale_f64 v[28:29], vcc, v[8:9], v[10:11], v[8:9]
	v_mul_f64 v[30:31], v[28:29], v[26:27]
	v_fma_f64 v[16:17], -v[16:17], v[30:31], v[28:29]
	s_nop 1
	v_div_fmas_f64 v[16:17], v[16:17], v[26:27], v[30:31]
	v_div_fixup_f64 v[8:9], v[16:17], v[10:11], v[8:9]
	v_div_scale_f64 v[16:17], s[2:3], v[10:11], v[10:11], -1.0
	v_rcp_f64_e32 v[26:27], v[16:17]
	s_mov_b32 s2, 0xe2308c3a
	s_mov_b32 s3, 0x3e45798e
	v_fma_f64 v[28:29], -v[16:17], v[26:27], 1.0
	v_fmac_f64_e32 v[26:27], v[26:27], v[28:29]
	v_fma_f64 v[28:29], -v[16:17], v[26:27], 1.0
	v_fmac_f64_e32 v[26:27], v[26:27], v[28:29]
	v_div_scale_f64 v[28:29], vcc, -1.0, v[10:11], -1.0
	v_mul_f64 v[30:31], v[28:29], v[26:27]
	v_fma_f64 v[16:17], -v[16:17], v[30:31], v[28:29]
	s_nop 1
	v_div_fmas_f64 v[16:17], v[16:17], v[26:27], v[30:31]
	v_div_fixup_f64 v[26:27], v[16:17], v[10:11], -1.0
	v_cmp_ngt_f64_e64 s[2:3], |v[26:27]|, s[2:3]
	s_and_saveexec_b64 s[4:5], s[2:3]
	s_xor_b64 s[2:3], exec, s[4:5]
; %bb.24:
	v_mul_f64 v[46:47], v[8:9], s[12:13]
                                        ; implicit-def: $vgpr26_vgpr27
                                        ; implicit-def: $vgpr8_vgpr9
; %bb.25:
	s_andn2_saveexec_b64 s[4:5], s[2:3]
	s_cbranch_execz .LBB0_27
; %bb.26:
	s_mov_b32 s2, 0x652b82fe
	v_mul_f64 v[10:11], v[26:27], s[12:13]
	s_mov_b32 s3, 0x3ff71547
	v_mul_f64 v[16:17], v[10:11], s[2:3]
	s_mov_b32 s2, 0xfefa39ef
	v_rndne_f64_e32 v[16:17], v[16:17]
	s_mov_b32 s3, 0xbfe62e42
	v_fma_f64 v[28:29], s[2:3], v[16:17], v[10:11]
	s_mov_b32 s2, 0x3b39803f
	s_mov_b32 s3, 0xbc7abc9e
	v_fmac_f64_e32 v[28:29], s[2:3], v[16:17]
	s_mov_b32 s2, 0x6a5dcb37
	v_mov_b32_e32 v30, 0xfca7ab0c
	v_mov_b32_e32 v31, 0x3e928af3
	s_mov_b32 s3, 0x3e5ade15
	v_fmac_f64_e32 v[30:31], s[2:3], v[28:29]
	v_mov_b32_e32 v34, 0x623fde64
	v_mov_b32_e32 v35, 0x3ec71dee
	v_fmac_f64_e32 v[34:35], v[28:29], v[30:31]
	v_mov_b32_e32 v30, 0x7c89e6b0
	v_mov_b32_e32 v31, 0x3efa0199
	;; [unrolled: 3-line block ×8, first 2 shown]
	v_fmac_f64_e32 v[30:31], v[28:29], v[34:35]
	s_mov_b32 s2, 0
	v_fma_f64 v[30:31], v[28:29], v[30:31], 1.0
	s_mov_b32 s3, 0x40900000
	v_fma_f64 v[28:29], v[28:29], v[30:31], 1.0
	v_cvt_i32_f64_e32 v16, v[16:17]
	v_cmp_nlt_f64_e32 vcc, s[2:3], v[10:11]
	s_mov_b32 s2, 0
	v_ldexp_f64 v[16:17], v[28:29], v16
	s_mov_b32 s3, 0xc090cc00
	v_add_f64 v[16:17], v[16:17], -1.0
	v_mov_b32_e32 v22, 0x7ff00000
	v_cmp_ngt_f64_e64 s[2:3], s[2:3], v[10:11]
	v_cndmask_b32_e32 v17, v22, v17, vcc
	v_mov_b32_e32 v22, 0xbff00000
	s_and_b64 vcc, s[2:3], vcc
	v_cndmask_b32_e64 v11, v22, v17, s[2:3]
	v_cndmask_b32_e32 v10, 0, v16, vcc
	v_mul_f64 v[8:9], v[8:9], v[10:11]
	v_div_scale_f64 v[10:11], s[2:3], v[26:27], v[26:27], v[8:9]
	v_rcp_f64_e32 v[16:17], v[10:11]
	v_fma_f64 v[28:29], -v[10:11], v[16:17], 1.0
	v_fmac_f64_e32 v[16:17], v[16:17], v[28:29]
	v_fma_f64 v[28:29], -v[10:11], v[16:17], 1.0
	v_fmac_f64_e32 v[16:17], v[16:17], v[28:29]
	v_div_scale_f64 v[28:29], vcc, v[8:9], v[26:27], v[8:9]
	v_mul_f64 v[30:31], v[28:29], v[16:17]
	v_fma_f64 v[10:11], -v[10:11], v[30:31], v[28:29]
	s_nop 1
	v_div_fmas_f64 v[10:11], v[10:11], v[16:17], v[30:31]
	v_div_fixup_f64 v[46:47], v[10:11], v[26:27], v[8:9]
.LBB0_27:
	s_or_b64 exec, exec, s[4:5]
	s_mov_b32 s2, 0x9fbe76c9
	s_mov_b32 s4, 0x33333333
	;; [unrolled: 1-line block ×4, first 2 shown]
	v_add_f64 v[8:9], v[90:91], v[46:47]
	s_mov_b32 s3, 0x3fad2f1a
	s_mov_b32 s5, 0x3fe33333
	;; [unrolled: 1-line block ×4, first 2 shown]
	global_store_dwordx2 v[112:113], v[8:9], off
	v_pk_mov_b32 v[26:27], s[8:9], s[8:9] op_sel:[0,1]
	v_pk_mov_b32 v[46:47], s[6:7], s[6:7] op_sel:[0,1]
	;; [unrolled: 1-line block ×4, first 2 shown]
	v_pk_mov_b32 v[8:9], 0, 0
	s_and_saveexec_b64 s[2:3], s[0:1]
	s_cbranch_execz .LBB0_29
; %bb.28:
	s_mov_b32 s0, 0xa3d70a4
	s_mov_b32 s1, 0x4042e3d7
	v_add_f64 v[8:9], v[4:5], s[0:1]
	s_mov_b32 s0, 0xcb923a2a
	s_mov_b32 s1, 0x3fcf487f
	;; [unrolled: 1-line block ×3, first 2 shown]
	v_mul_f64 v[10:11], v[4:5], s[0:1]
	s_mov_b32 s5, 0x3ff71547
	v_mul_f64 v[16:17], v[10:11], s[4:5]
	s_mov_b32 s6, 0xfefa39ef
	v_rndne_f64_e32 v[16:17], v[16:17]
	s_mov_b32 s7, 0xbfe62e42
	s_mov_b32 s8, 0x3b39803f
	s_mov_b32 s0, 0xfca7ab0c
	v_fma_f64 v[28:29], s[6:7], v[16:17], v[10:11]
	s_mov_b32 s9, 0xbc7abc9e
	s_mov_b32 s1, 0x3e928af3
	;; [unrolled: 1-line block ×3, first 2 shown]
	v_fmac_f64_e32 v[28:29], s[8:9], v[16:17]
	s_mov_b32 s15, 0x3e5ade15
	v_pk_mov_b32 v[26:27], s[0:1], s[0:1] op_sel:[0,1]
	s_mov_b32 s16, 0x623fde64
	v_fma_f64 v[30:31], s[14:15], v[28:29], v[26:27]
	s_mov_b32 s17, 0x3ec71dee
	s_mov_b32 s18, 0x7c89e6b0
	v_fma_f64 v[30:31], v[28:29], v[30:31], s[16:17]
	s_mov_b32 s19, 0x3efa0199
	;; [unrolled: 3-line block ×8, first 2 shown]
	v_fma_f64 v[30:31], v[28:29], v[30:31], s[30:31]
	v_fma_f64 v[30:31], v[28:29], v[30:31], 1.0
	v_fma_f64 v[28:29], v[28:29], v[30:31], 1.0
	v_cvt_i32_f64_e32 v16, v[16:17]
	s_mov_b32 s0, 0
	s_mov_b32 s34, 0
	v_ldexp_f64 v[16:17], v[28:29], v16
	s_mov_b32 s1, 0xc0d8d500
	s_mov_b32 s35, 0x40900000
	;; [unrolled: 1-line block ×3, first 2 shown]
	v_mul_f64 v[16:17], v[16:17], s[0:1]
	v_mov_b32_e32 v22, 0xfff00000
	v_cmp_nlt_f64_e32 vcc, s[34:35], v[10:11]
	s_mov_b32 s37, 0xc090cc00
	v_cndmask_b32_e32 v17, v22, v17, vcc
	v_bfrev_b32_e32 v22, 1
	v_cmp_ngt_f64_e64 s[0:1], s[36:37], v[10:11]
	v_cndmask_b32_e64 v11, v22, v17, s[0:1]
	s_and_b64 vcc, s[0:1], vcc
	s_mov_b32 s0, 0x1bef49cf
	s_mov_b32 s1, 0xbfa67b5f
	v_cndmask_b32_e32 v10, 0, v16, vcc
	v_mul_f64 v[16:17], v[4:5], s[0:1]
	v_mul_f64 v[28:29], v[16:17], s[4:5]
	v_rndne_f64_e32 v[28:29], v[28:29]
	v_fma_f64 v[30:31], s[6:7], v[28:29], v[16:17]
	v_fmac_f64_e32 v[30:31], s[8:9], v[28:29]
	v_fma_f64 v[34:35], s[14:15], v[30:31], v[26:27]
	v_fma_f64 v[34:35], v[30:31], v[34:35], s[16:17]
	;; [unrolled: 1-line block ×9, first 2 shown]
	v_fma_f64 v[34:35], v[30:31], v[34:35], 1.0
	v_fma_f64 v[30:31], v[30:31], v[34:35], 1.0
	v_cvt_i32_f64_e32 v22, v[28:29]
	s_mov_b32 s0, 0xb28be17e
	v_ldexp_f64 v[28:29], v[30:31], v22
	s_mov_b32 s1, 0x3edd245b
	v_mul_f64 v[28:29], v[28:29], s[0:1]
	v_mov_b32_e32 v22, 0x7ff00000
	v_cmp_nlt_f64_e32 vcc, s[34:35], v[16:17]
	v_cmp_ngt_f64_e64 s[0:1], s[36:37], v[16:17]
	v_cndmask_b32_e32 v23, v22, v29, vcc
	s_and_b64 vcc, s[0:1], vcc
	v_cndmask_b32_e64 v17, 0, v23, s[0:1]
	v_cndmask_b32_e32 v16, 0, v28, vcc
	s_mov_b32 s0, 0x8b439581
	v_add_f64 v[10:11], v[10:11], -v[16:17]
	s_mov_b32 s1, 0x3fd3e76c
	v_mul_f64 v[8:9], v[8:9], v[10:11]
	v_mul_f64 v[10:11], v[4:5], s[0:1]
	;; [unrolled: 1-line block ×3, first 2 shown]
	v_rndne_f64_e32 v[16:17], v[16:17]
	v_fma_f64 v[28:29], s[6:7], v[16:17], v[10:11]
	v_fmac_f64_e32 v[28:29], s[8:9], v[16:17]
	v_fmac_f64_e32 v[26:27], s[14:15], v[28:29]
	v_fma_f64 v[26:27], v[28:29], v[26:27], s[16:17]
	v_fma_f64 v[26:27], v[28:29], v[26:27], s[18:19]
	;; [unrolled: 1-line block ×8, first 2 shown]
	v_fma_f64 v[26:27], v[28:29], v[26:27], 1.0
	v_fma_f64 v[26:27], v[28:29], v[26:27], 1.0
	v_cvt_i32_f64_e32 v16, v[16:17]
	s_mov_b32 s0, 0x45c3e873
	v_ldexp_f64 v[16:17], v[26:27], v16
	s_mov_b32 s1, 0x422767c9
	v_fma_f64 v[16:17], v[16:17], s[0:1], 1.0
	v_cmp_nlt_f64_e32 vcc, s[34:35], v[10:11]
	v_cmp_ngt_f64_e64 s[0:1], s[36:37], v[10:11]
	v_cndmask_b32_e32 v17, v22, v17, vcc
	v_mov_b32_e32 v22, 0x3ff00000
	s_and_b64 vcc, s[0:1], vcc
	v_cndmask_b32_e64 v11, v22, v17, s[0:1]
	v_cndmask_b32_e32 v10, 0, v16, vcc
	v_div_scale_f64 v[16:17], s[0:1], v[10:11], v[10:11], v[8:9]
	v_rcp_f64_e32 v[26:27], v[16:17]
	s_mov_b32 s0, 0x7fa1a0cf
	s_mov_b32 s4, 0xdd052935
	;; [unrolled: 1-line block ×3, first 2 shown]
	v_fma_f64 v[28:29], -v[16:17], v[26:27], 1.0
	v_fmac_f64_e32 v[26:27], v[26:27], v[28:29]
	v_fma_f64 v[28:29], -v[16:17], v[26:27], 1.0
	v_fmac_f64_e32 v[26:27], v[26:27], v[28:29]
	v_div_scale_f64 v[28:29], vcc, v[8:9], v[10:11], v[8:9]
	v_mul_f64 v[30:31], v[28:29], v[26:27]
	v_fma_f64 v[16:17], -v[16:17], v[30:31], v[28:29]
	s_mov_b32 s8, 0x7fbd086c
	s_nop 0
	v_div_fmas_f64 v[16:17], v[16:17], v[26:27], v[30:31]
	s_mov_b32 s1, 0xbf858b82
	s_mov_b32 s5, 0x3f98d25e
	;; [unrolled: 1-line block ×4, first 2 shown]
	v_div_fixup_f64 v[8:9], v[16:17], v[10:11], v[8:9]
	v_pk_mov_b32 v[26:27], s[8:9], s[8:9] op_sel:[0,1]
	v_pk_mov_b32 v[46:47], s[6:7], s[6:7] op_sel:[0,1]
	;; [unrolled: 1-line block ×4, first 2 shown]
.LBB0_29:
	s_or_b64 exec, exec, s[2:3]
	s_mov_b32 s2, 0x652b82fe
	v_mul_f64 v[10:11], v[4:5], v[50:51]
	s_mov_b32 s3, 0x3ff71547
	v_mul_f64 v[16:17], v[10:11], s[2:3]
	s_mov_b32 s4, 0xfefa39ef
	v_rndne_f64_e32 v[16:17], v[16:17]
	s_mov_b32 s5, 0xbfe62e42
	s_mov_b32 s6, 0x3b39803f
	;; [unrolled: 1-line block ×3, first 2 shown]
	v_fma_f64 v[28:29], s[4:5], v[16:17], v[10:11]
	s_mov_b32 s7, 0xbc7abc9e
	s_mov_b32 s1, 0x3e928af3
	s_mov_b32 s8, 0x6a5dcb37
	v_fmac_f64_e32 v[28:29], s[6:7], v[16:17]
	s_mov_b32 s9, 0x3e5ade15
	v_pk_mov_b32 v[30:31], s[0:1], s[0:1] op_sel:[0,1]
	s_mov_b32 s14, 0x623fde64
	v_fma_f64 v[34:35], s[8:9], v[28:29], v[30:31]
	s_mov_b32 s15, 0x3ec71dee
	s_mov_b32 s16, 0x7c89e6b0
	v_fma_f64 v[34:35], v[28:29], v[34:35], s[14:15]
	s_mov_b32 s17, 0x3efa0199
	;; [unrolled: 3-line block ×8, first 2 shown]
	v_fma_f64 v[34:35], v[28:29], v[34:35], s[28:29]
	v_fma_f64 v[34:35], v[28:29], v[34:35], 1.0
	v_fma_f64 v[28:29], v[28:29], v[34:35], 1.0
	v_cvt_i32_f64_e32 v16, v[16:17]
	s_mov_b32 s30, 0
	s_mov_b32 s34, 0
	v_ldexp_f64 v[16:17], v[28:29], v16
	s_mov_b32 s31, 0x40900000
	s_mov_b32 s35, 0xc090cc00
	v_mul_f64 v[16:17], v[16:17], v[48:49]
	v_mov_b32_e32 v22, 0x7ff00000
	v_cmp_nlt_f64_e32 vcc, s[30:31], v[10:11]
	v_cmp_ngt_f64_e64 s[0:1], s[34:35], v[10:11]
	v_cndmask_b32_e32 v17, v22, v17, vcc
	s_and_b64 vcc, s[0:1], vcc
	v_cndmask_b32_e64 v11, 0, v17, s[0:1]
	v_cndmask_b32_e32 v10, 0, v16, vcc
	v_mul_f64 v[16:17], v[4:5], v[46:47]
	v_mul_f64 v[28:29], v[16:17], s[2:3]
	v_rndne_f64_e32 v[28:29], v[28:29]
	v_fma_f64 v[34:35], s[4:5], v[28:29], v[16:17]
	v_fmac_f64_e32 v[34:35], s[6:7], v[28:29]
	v_fmac_f64_e32 v[30:31], s[8:9], v[34:35]
	v_fma_f64 v[30:31], v[34:35], v[30:31], s[14:15]
	v_fma_f64 v[30:31], v[34:35], v[30:31], s[16:17]
	;; [unrolled: 1-line block ×8, first 2 shown]
	v_fma_f64 v[30:31], v[34:35], v[30:31], 1.0
	v_fma_f64 v[30:31], v[34:35], v[30:31], 1.0
	v_cvt_i32_f64_e32 v23, v[28:29]
	v_ldexp_f64 v[28:29], v[30:31], v23
	v_fma_f64 v[26:27], v[28:29], v[26:27], 1.0
	v_cmp_nlt_f64_e32 vcc, s[30:31], v[16:17]
	v_cmp_ngt_f64_e64 s[0:1], s[34:35], v[16:17]
	v_cndmask_b32_e32 v22, v22, v27, vcc
	v_mov_b32_e32 v23, 0x3ff00000
	s_and_b64 vcc, s[0:1], vcc
	v_cndmask_b32_e64 v17, v23, v22, s[0:1]
	v_cndmask_b32_e32 v16, 0, v26, vcc
	v_div_scale_f64 v[26:27], s[0:1], v[16:17], v[16:17], v[10:11]
	v_rcp_f64_e32 v[28:29], v[26:27]
	v_add_f64 v[6:7], v[6:7], -v[36:37]
	v_fma_f64 v[30:31], -v[26:27], v[28:29], 1.0
	v_fmac_f64_e32 v[28:29], v[28:29], v[30:31]
	v_fma_f64 v[30:31], -v[26:27], v[28:29], 1.0
	v_fmac_f64_e32 v[28:29], v[28:29], v[30:31]
	v_div_scale_f64 v[30:31], vcc, v[10:11], v[16:17], v[10:11]
	v_mul_f64 v[34:35], v[30:31], v[28:29]
	v_fma_f64 v[26:27], -v[26:27], v[34:35], v[30:31]
	s_nop 1
	v_div_fmas_f64 v[26:27], v[26:27], v[28:29], v[34:35]
	v_div_fixup_f64 v[10:11], v[26:27], v[16:17], v[10:11]
	v_add_f64 v[8:9], v[8:9], v[10:11]
	v_div_scale_f64 v[10:11], s[0:1], v[8:9], v[8:9], 1.0
	v_rcp_f64_e32 v[16:17], v[10:11]
	v_fma_f64 v[26:27], -v[10:11], v[16:17], 1.0
	v_fmac_f64_e32 v[16:17], v[16:17], v[26:27]
	v_fma_f64 v[26:27], -v[10:11], v[16:17], 1.0
	v_fmac_f64_e32 v[16:17], v[16:17], v[26:27]
	v_div_scale_f64 v[26:27], vcc, 1.0, v[8:9], 1.0
	v_mul_f64 v[28:29], v[26:27], v[16:17]
	v_fma_f64 v[10:11], -v[10:11], v[28:29], v[26:27]
	s_nop 1
	v_div_fmas_f64 v[10:11], v[10:11], v[16:17], v[28:29]
	v_div_fixup_f64 v[10:11], v[10:11], v[8:9], 1.0
	v_div_scale_f64 v[8:9], s[0:1], v[10:11], v[10:11], v[6:7]
	v_rcp_f64_e32 v[16:17], v[8:9]
	v_fma_f64 v[26:27], -v[8:9], v[16:17], 1.0
	v_fmac_f64_e32 v[16:17], v[16:17], v[26:27]
	v_fma_f64 v[26:27], -v[8:9], v[16:17], 1.0
	v_fmac_f64_e32 v[16:17], v[16:17], v[26:27]
	v_div_scale_f64 v[26:27], vcc, v[6:7], v[10:11], v[6:7]
	v_mul_f64 v[28:29], v[26:27], v[16:17]
	v_fma_f64 v[8:9], -v[8:9], v[28:29], v[26:27]
	v_div_scale_f64 v[26:27], s[0:1], v[10:11], v[10:11], -1.0
	v_rcp_f64_e32 v[30:31], v[26:27]
	v_div_fmas_f64 v[8:9], v[8:9], v[16:17], v[28:29]
	v_div_fixup_f64 v[8:9], v[8:9], v[10:11], v[6:7]
	s_mov_b32 s0, 0xe2308c3a
	v_fma_f64 v[6:7], -v[26:27], v[30:31], 1.0
	v_fmac_f64_e32 v[30:31], v[30:31], v[6:7]
	v_fma_f64 v[6:7], -v[26:27], v[30:31], 1.0
	v_fmac_f64_e32 v[30:31], v[30:31], v[6:7]
	v_div_scale_f64 v[6:7], vcc, -1.0, v[10:11], -1.0
	v_mul_f64 v[16:17], v[6:7], v[30:31]
	v_fma_f64 v[6:7], -v[26:27], v[16:17], v[6:7]
	s_mov_b32 s1, 0x3e45798e
	s_nop 0
	v_div_fmas_f64 v[6:7], v[6:7], v[30:31], v[16:17]
	v_div_fixup_f64 v[6:7], v[6:7], v[10:11], -1.0
	v_cmp_ngt_f64_e64 s[0:1], |v[6:7]|, s[0:1]
                                        ; implicit-def: $vgpr26_vgpr27
	s_and_saveexec_b64 s[2:3], s[0:1]
	s_xor_b64 s[0:1], exec, s[2:3]
; %bb.30:
	v_mul_f64 v[26:27], v[8:9], s[12:13]
                                        ; implicit-def: $vgpr6_vgpr7
                                        ; implicit-def: $vgpr8_vgpr9
; %bb.31:
	s_andn2_saveexec_b64 s[2:3], s[0:1]
	s_cbranch_execz .LBB0_33
; %bb.32:
	s_mov_b32 s0, 0x652b82fe
	v_mul_f64 v[10:11], v[6:7], s[12:13]
	s_mov_b32 s1, 0x3ff71547
	v_mul_f64 v[16:17], v[10:11], s[0:1]
	s_mov_b32 s0, 0xfefa39ef
	v_rndne_f64_e32 v[16:17], v[16:17]
	s_mov_b32 s1, 0xbfe62e42
	v_fma_f64 v[26:27], s[0:1], v[16:17], v[10:11]
	s_mov_b32 s0, 0x3b39803f
	s_mov_b32 s1, 0xbc7abc9e
	v_fmac_f64_e32 v[26:27], s[0:1], v[16:17]
	s_mov_b32 s0, 0x6a5dcb37
	v_mov_b32_e32 v28, 0xfca7ab0c
	v_mov_b32_e32 v29, 0x3e928af3
	s_mov_b32 s1, 0x3e5ade15
	v_fmac_f64_e32 v[28:29], s[0:1], v[26:27]
	v_mov_b32_e32 v30, 0x623fde64
	v_mov_b32_e32 v31, 0x3ec71dee
	v_fmac_f64_e32 v[30:31], v[26:27], v[28:29]
	v_mov_b32_e32 v28, 0x7c89e6b0
	v_mov_b32_e32 v29, 0x3efa0199
	;; [unrolled: 3-line block ×8, first 2 shown]
	v_fmac_f64_e32 v[28:29], v[26:27], v[30:31]
	s_mov_b32 s0, 0
	v_fma_f64 v[28:29], v[26:27], v[28:29], 1.0
	s_mov_b32 s1, 0x40900000
	v_fma_f64 v[26:27], v[26:27], v[28:29], 1.0
	v_cvt_i32_f64_e32 v16, v[16:17]
	v_cmp_nlt_f64_e32 vcc, s[0:1], v[10:11]
	s_mov_b32 s0, 0
	v_ldexp_f64 v[16:17], v[26:27], v16
	s_mov_b32 s1, 0xc090cc00
	v_add_f64 v[16:17], v[16:17], -1.0
	v_mov_b32_e32 v22, 0x7ff00000
	v_cmp_ngt_f64_e64 s[0:1], s[0:1], v[10:11]
	v_cndmask_b32_e32 v17, v22, v17, vcc
	v_mov_b32_e32 v22, 0xbff00000
	s_and_b64 vcc, s[0:1], vcc
	v_cndmask_b32_e64 v11, v22, v17, s[0:1]
	v_cndmask_b32_e32 v10, 0, v16, vcc
	v_mul_f64 v[8:9], v[8:9], v[10:11]
	v_div_scale_f64 v[10:11], s[0:1], v[6:7], v[6:7], v[8:9]
	v_rcp_f64_e32 v[16:17], v[10:11]
	v_fma_f64 v[26:27], -v[10:11], v[16:17], 1.0
	v_fmac_f64_e32 v[16:17], v[16:17], v[26:27]
	v_fma_f64 v[26:27], -v[10:11], v[16:17], 1.0
	v_fmac_f64_e32 v[16:17], v[16:17], v[26:27]
	v_div_scale_f64 v[26:27], vcc, v[8:9], v[6:7], v[8:9]
	v_mul_f64 v[28:29], v[26:27], v[16:17]
	v_fma_f64 v[10:11], -v[10:11], v[28:29], v[26:27]
	s_nop 1
	v_div_fmas_f64 v[10:11], v[10:11], v[16:17], v[28:29]
	v_div_fixup_f64 v[26:27], v[10:11], v[6:7], v[8:9]
.LBB0_33:
	s_or_b64 exec, exec, s[2:3]
	s_mov_b32 s0, 0x11111105
	s_mov_b32 s1, 0xbfc11111
	;; [unrolled: 1-line block ×3, first 2 shown]
	v_add_f64 v[6:7], v[36:37], v[26:27]
	v_mul_f64 v[8:9], v[4:5], s[0:1]
	s_mov_b32 s3, 0x3ff71547
	global_store_dwordx2 v[104:105], v[6:7], off
	v_mul_f64 v[6:7], v[8:9], s[2:3]
	v_rndne_f64_e32 v[10:11], v[6:7]
	s_mov_b32 s0, 0xfca7ab0c
	v_fma_f64 v[16:17], s[4:5], v[10:11], v[8:9]
	s_mov_b32 s1, 0x3e928af3
	v_fmac_f64_e32 v[16:17], s[6:7], v[10:11]
	v_pk_mov_b32 v[6:7], s[0:1], s[0:1] op_sel:[0,1]
	v_fma_f64 v[26:27], s[8:9], v[16:17], v[6:7]
	v_fma_f64 v[26:27], v[16:17], v[26:27], s[14:15]
	;; [unrolled: 1-line block ×9, first 2 shown]
	v_fma_f64 v[26:27], v[16:17], v[26:27], 1.0
	v_fma_f64 v[16:17], v[16:17], v[26:27], 1.0
	v_cvt_i32_f64_e32 v10, v[10:11]
	s_mov_b32 s0, 0x9ad86a7a
	v_ldexp_f64 v[10:11], v[16:17], v10
	s_mov_b32 s1, 0x3fd6069d
	v_fma_f64 v[10:11], v[10:11], s[0:1], 1.0
	v_div_scale_f64 v[16:17], s[0:1], v[10:11], v[10:11], 1.0
	v_rcp_f64_e32 v[26:27], v[16:17]
	v_cmp_ngt_f64_e64 s[0:1], s[34:35], v[8:9]
	v_mov_b32_e32 v22, 0x3ff00000
	v_mov_b32_e32 v23, 0x3fd00000
	v_fma_f64 v[28:29], -v[16:17], v[26:27], 1.0
	v_fmac_f64_e32 v[26:27], v[26:27], v[28:29]
	v_fma_f64 v[28:29], -v[16:17], v[26:27], 1.0
	v_fmac_f64_e32 v[26:27], v[26:27], v[28:29]
	v_div_scale_f64 v[28:29], vcc, 1.0, v[10:11], 1.0
	v_mul_f64 v[30:31], v[28:29], v[26:27]
	v_fma_f64 v[16:17], -v[16:17], v[30:31], v[28:29]
	s_nop 1
	v_div_fmas_f64 v[16:17], v[16:17], v[26:27], v[30:31]
	v_div_fixup_f64 v[10:11], v[16:17], v[10:11], 1.0
	v_cmp_nlt_f64_e32 vcc, s[30:31], v[8:9]
	v_cndmask_b32_e32 v11, 0, v11, vcc
	s_and_b64 vcc, s[0:1], vcc
	v_cndmask_b32_e64 v9, v22, v11, s[0:1]
	s_mov_b32 s0, 0
	s_mov_b32 s1, 0xc02a0000
	v_cndmask_b32_e32 v8, 0, v10, vcc
	v_div_scale_f64 v[10:11], s[36:37], s[0:1], s[0:1], v[4:5]
	v_rcp_f64_e32 v[16:17], v[10:11]
	v_fma_f64 v[26:27], -v[10:11], v[16:17], 1.0
	v_fmac_f64_e32 v[16:17], v[16:17], v[26:27]
	v_fma_f64 v[26:27], -v[10:11], v[16:17], 1.0
	v_fmac_f64_e32 v[16:17], v[16:17], v[26:27]
	v_div_scale_f64 v[26:27], vcc, v[4:5], s[0:1], v[4:5]
	v_mul_f64 v[28:29], v[26:27], v[16:17]
	v_fma_f64 v[10:11], -v[10:11], v[28:29], v[26:27]
	s_nop 1
	v_div_fmas_f64 v[10:11], v[10:11], v[16:17], v[28:29]
	v_div_fixup_f64 v[10:11], v[10:11], s[0:1], v[4:5]
	s_mov_b32 s0, 0x9d89d89e
	s_mov_b32 s1, 0xc00589d8
	v_add_f64 v[10:11], v[10:11], s[0:1]
	v_mul_f64 v[16:17], v[10:11], s[2:3]
	v_rndne_f64_e32 v[16:17], v[16:17]
	v_fma_f64 v[26:27], s[4:5], v[16:17], v[10:11]
	v_fmac_f64_e32 v[26:27], s[6:7], v[16:17]
	v_fma_f64 v[28:29], s[8:9], v[26:27], v[6:7]
	v_fma_f64 v[28:29], v[26:27], v[28:29], s[14:15]
	;; [unrolled: 1-line block ×9, first 2 shown]
	v_fma_f64 v[28:29], v[26:27], v[28:29], 1.0
	v_fma_f64 v[26:27], v[26:27], v[28:29], 1.0
	v_cvt_i32_f64_e32 v16, v[16:17]
	v_ldexp_f64 v[16:17], v[26:27], v16
	s_mov_b32 s0, 0x66666666
	v_add_f64 v[16:17], v[16:17], 1.0
	s_mov_b32 s1, 0x3ff66666
	v_div_scale_f64 v[26:27], s[36:37], v[16:17], v[16:17], s[0:1]
	v_rcp_f64_e32 v[28:29], v[26:27]
	s_mov_b32 s36, 0
	s_mov_b32 s37, 0x3fd00000
	v_fma_f64 v[30:31], -v[26:27], v[28:29], 1.0
	v_fmac_f64_e32 v[28:29], v[28:29], v[30:31]
	v_fma_f64 v[30:31], -v[26:27], v[28:29], 1.0
	v_fmac_f64_e32 v[28:29], v[28:29], v[30:31]
	v_div_scale_f64 v[30:31], vcc, s[0:1], v[16:17], s[0:1]
	v_mul_f64 v[34:35], v[30:31], v[28:29]
	v_fma_f64 v[26:27], -v[26:27], v[34:35], v[30:31]
	s_nop 1
	v_div_fmas_f64 v[26:27], v[26:27], v[28:29], v[34:35]
	v_div_fixup_f64 v[16:17], v[26:27], v[16:17], s[0:1]
	v_add_f64 v[16:17], v[16:17], s[36:37]
	v_cmp_nlt_f64_e32 vcc, s[30:31], v[10:11]
	v_cndmask_b32_e32 v16, 0, v16, vcc
	v_cndmask_b32_e32 v17, v23, v17, vcc
	v_cmp_ngt_f64_e32 vcc, s[34:35], v[10:11]
	v_mov_b32_e32 v10, 0x3ffa6666
	v_cndmask_b32_e32 v27, v10, v17, vcc
	v_mov_b32_e32 v23, 0x66666666
	v_add_f64 v[10:11], v[0:1], 1.0
	v_cndmask_b32_e32 v26, v23, v16, vcc
	v_mul_f64 v[16:17], v[10:11], s[2:3]
	v_rndne_f64_e32 v[16:17], v[16:17]
	v_fma_f64 v[28:29], s[4:5], v[16:17], v[10:11]
	v_fmac_f64_e32 v[28:29], s[6:7], v[16:17]
	v_fma_f64 v[30:31], s[8:9], v[28:29], v[6:7]
	v_fma_f64 v[30:31], v[28:29], v[30:31], s[14:15]
	;; [unrolled: 1-line block ×9, first 2 shown]
	v_fma_f64 v[30:31], v[28:29], v[30:31], 1.0
	v_fma_f64 v[28:29], v[28:29], v[30:31], 1.0
	v_cvt_i32_f64_e32 v16, v[16:17]
	v_ldexp_f64 v[16:17], v[28:29], v16
	v_add_f64 v[16:17], v[16:17], 1.0
	v_div_scale_f64 v[28:29], s[36:37], v[16:17], v[16:17], s[0:1]
	v_rcp_f64_e32 v[30:31], v[28:29]
	v_fma_f64 v[34:35], -v[28:29], v[30:31], 1.0
	v_fmac_f64_e32 v[30:31], v[30:31], v[34:35]
	v_fma_f64 v[34:35], -v[28:29], v[30:31], 1.0
	v_fmac_f64_e32 v[30:31], v[30:31], v[34:35]
	v_div_scale_f64 v[34:35], vcc, s[0:1], v[16:17], s[0:1]
	v_mul_f64 v[38:39], v[34:35], v[30:31]
	v_fma_f64 v[28:29], -v[28:29], v[38:39], v[34:35]
	s_nop 1
	v_div_fmas_f64 v[28:29], v[28:29], v[30:31], v[38:39]
	v_div_fixup_f64 v[16:17], v[28:29], v[16:17], s[0:1]
	s_mov_b32 s0, 0
	v_cmp_nlt_f64_e32 vcc, s[30:31], v[10:11]
	s_mov_b32 s1, 0x40040000
	v_cndmask_b32_e32 v16, 0, v16, vcc
	v_cndmask_b32_e32 v17, 0, v17, vcc
	v_cmp_ngt_f64_e32 vcc, s[34:35], v[10:11]
	v_mov_b32_e32 v10, 0x3ff66666
	v_add_f64 v[2:3], -v[2:3], s[0:1]
	v_cndmask_b32_e32 v11, v10, v17, vcc
	v_cndmask_b32_e32 v10, v23, v16, vcc
	v_mul_f64 v[16:17], v[2:3], s[2:3]
	v_rndne_f64_e32 v[16:17], v[16:17]
	v_fma_f64 v[28:29], s[4:5], v[16:17], v[2:3]
	v_fmac_f64_e32 v[28:29], s[6:7], v[16:17]
	v_fmac_f64_e32 v[6:7], s[8:9], v[28:29]
	v_fma_f64 v[6:7], v[28:29], v[6:7], s[14:15]
	v_fma_f64 v[6:7], v[28:29], v[6:7], s[16:17]
	;; [unrolled: 1-line block ×8, first 2 shown]
	v_fma_f64 v[6:7], v[28:29], v[6:7], 1.0
	v_fma_f64 v[6:7], v[28:29], v[6:7], 1.0
	v_cvt_i32_f64_e32 v16, v[16:17]
	v_ldexp_f64 v[6:7], v[6:7], v16
	v_add_f64 v[6:7], v[6:7], 1.0
	v_div_scale_f64 v[16:17], s[0:1], v[6:7], v[6:7], 1.0
	v_rcp_f64_e32 v[28:29], v[16:17]
	v_cmp_ngt_f64_e64 s[0:1], s[34:35], v[2:3]
	v_fma_f64 v[30:31], -v[16:17], v[28:29], 1.0
	v_fmac_f64_e32 v[28:29], v[28:29], v[30:31]
	v_fma_f64 v[30:31], -v[16:17], v[28:29], 1.0
	v_fmac_f64_e32 v[28:29], v[28:29], v[30:31]
	v_div_scale_f64 v[30:31], vcc, 1.0, v[6:7], 1.0
	v_mul_f64 v[34:35], v[30:31], v[28:29]
	v_fma_f64 v[16:17], -v[16:17], v[34:35], v[30:31]
	s_nop 1
	v_div_fmas_f64 v[16:17], v[16:17], v[28:29], v[34:35]
	v_div_fixup_f64 v[6:7], v[16:17], v[6:7], 1.0
	v_cmp_nlt_f64_e32 vcc, s[30:31], v[2:3]
	v_cndmask_b32_e32 v7, 0, v7, vcc
	s_and_b64 vcc, s[0:1], vcc
	v_cndmask_b32_e32 v6, 0, v6, vcc
	v_cndmask_b32_e64 v7, v22, v7, s[0:1]
	v_fmac_f64_e32 v[6:7], v[10:11], v[26:27]
	v_add_f64 v[2:3], v[8:9], -v[66:67]
	v_div_scale_f64 v[8:9], s[0:1], v[6:7], v[6:7], v[2:3]
	v_rcp_f64_e32 v[10:11], v[8:9]
	v_fma_f64 v[16:17], -v[8:9], v[10:11], 1.0
	v_fmac_f64_e32 v[10:11], v[10:11], v[16:17]
	v_fma_f64 v[16:17], -v[8:9], v[10:11], 1.0
	v_fmac_f64_e32 v[10:11], v[10:11], v[16:17]
	v_div_scale_f64 v[16:17], vcc, v[2:3], v[6:7], v[2:3]
	v_mul_f64 v[26:27], v[16:17], v[10:11]
	v_fma_f64 v[8:9], -v[8:9], v[26:27], v[16:17]
	s_nop 1
	v_div_fmas_f64 v[8:9], v[8:9], v[10:11], v[26:27]
	v_div_fixup_f64 v[2:3], v[8:9], v[6:7], v[2:3]
	v_div_scale_f64 v[8:9], s[0:1], v[6:7], v[6:7], -1.0
	v_rcp_f64_e32 v[10:11], v[8:9]
	s_mov_b32 s0, 0xe2308c3a
	s_mov_b32 s1, 0x3e45798e
	v_fma_f64 v[16:17], -v[8:9], v[10:11], 1.0
	v_fmac_f64_e32 v[10:11], v[10:11], v[16:17]
	v_fma_f64 v[16:17], -v[8:9], v[10:11], 1.0
	v_fmac_f64_e32 v[10:11], v[10:11], v[16:17]
	v_div_scale_f64 v[16:17], vcc, -1.0, v[6:7], -1.0
	v_mul_f64 v[26:27], v[16:17], v[10:11]
	v_fma_f64 v[8:9], -v[8:9], v[26:27], v[16:17]
	s_nop 1
	v_div_fmas_f64 v[8:9], v[8:9], v[10:11], v[26:27]
	v_div_fixup_f64 v[6:7], v[8:9], v[6:7], -1.0
	v_cmp_ngt_f64_e64 s[0:1], |v[6:7]|, s[0:1]
                                        ; implicit-def: $vgpr8_vgpr9
	s_and_saveexec_b64 s[2:3], s[0:1]
	s_xor_b64 s[0:1], exec, s[2:3]
; %bb.34:
	v_mul_f64 v[8:9], v[2:3], s[12:13]
                                        ; implicit-def: $vgpr6_vgpr7
                                        ; implicit-def: $vgpr2_vgpr3
; %bb.35:
	s_andn2_saveexec_b64 s[2:3], s[0:1]
	s_cbranch_execz .LBB0_37
; %bb.36:
	s_mov_b32 s0, 0x652b82fe
	v_mul_f64 v[8:9], v[6:7], s[12:13]
	s_mov_b32 s1, 0x3ff71547
	v_mul_f64 v[10:11], v[8:9], s[0:1]
	s_mov_b32 s0, 0xfefa39ef
	v_rndne_f64_e32 v[10:11], v[10:11]
	s_mov_b32 s1, 0xbfe62e42
	v_fma_f64 v[16:17], s[0:1], v[10:11], v[8:9]
	s_mov_b32 s0, 0x3b39803f
	s_mov_b32 s1, 0xbc7abc9e
	v_fmac_f64_e32 v[16:17], s[0:1], v[10:11]
	s_mov_b32 s0, 0x6a5dcb37
	v_mov_b32_e32 v26, 0xfca7ab0c
	v_mov_b32_e32 v27, 0x3e928af3
	s_mov_b32 s1, 0x3e5ade15
	v_fmac_f64_e32 v[26:27], s[0:1], v[16:17]
	v_mov_b32_e32 v28, 0x623fde64
	v_mov_b32_e32 v29, 0x3ec71dee
	v_fmac_f64_e32 v[28:29], v[16:17], v[26:27]
	v_mov_b32_e32 v26, 0x7c89e6b0
	v_mov_b32_e32 v27, 0x3efa0199
	;; [unrolled: 3-line block ×8, first 2 shown]
	v_fmac_f64_e32 v[26:27], v[16:17], v[28:29]
	s_mov_b32 s0, 0
	v_fma_f64 v[26:27], v[16:17], v[26:27], 1.0
	s_mov_b32 s1, 0x40900000
	v_fma_f64 v[16:17], v[16:17], v[26:27], 1.0
	v_cvt_i32_f64_e32 v10, v[10:11]
	v_cmp_nlt_f64_e32 vcc, s[0:1], v[8:9]
	s_mov_b32 s0, 0
	v_ldexp_f64 v[10:11], v[16:17], v10
	s_mov_b32 s1, 0xc090cc00
	v_add_f64 v[10:11], v[10:11], -1.0
	v_mov_b32_e32 v16, 0x7ff00000
	v_cmp_ngt_f64_e64 s[0:1], s[0:1], v[8:9]
	v_cndmask_b32_e32 v11, v16, v11, vcc
	v_mov_b32_e32 v16, 0xbff00000
	s_and_b64 vcc, s[0:1], vcc
	v_cndmask_b32_e64 v9, v16, v11, s[0:1]
	v_cndmask_b32_e32 v8, 0, v10, vcc
	v_mul_f64 v[2:3], v[2:3], v[8:9]
	v_div_scale_f64 v[8:9], s[0:1], v[6:7], v[6:7], v[2:3]
	v_rcp_f64_e32 v[10:11], v[8:9]
	v_fma_f64 v[16:17], -v[8:9], v[10:11], 1.0
	v_fmac_f64_e32 v[10:11], v[10:11], v[16:17]
	v_fma_f64 v[16:17], -v[8:9], v[10:11], 1.0
	v_fmac_f64_e32 v[10:11], v[10:11], v[16:17]
	v_div_scale_f64 v[16:17], vcc, v[2:3], v[6:7], v[2:3]
	v_mul_f64 v[26:27], v[16:17], v[10:11]
	v_fma_f64 v[8:9], -v[8:9], v[26:27], v[16:17]
	s_nop 1
	v_div_fmas_f64 v[8:9], v[8:9], v[10:11], v[26:27]
	v_div_fixup_f64 v[8:9], v[8:9], v[6:7], v[2:3]
.LBB0_37:
	s_or_b64 exec, exec, s[2:3]
	v_add_f64 v[2:3], v[66:67], v[8:9]
	global_store_dwordx2 v[96:97], v[2:3], off
	buffer_load_dword v48, off, s[56:59], 0 offset:360 ; 4-byte Folded Reload
	buffer_load_dword v49, off, s[56:59], 0 offset:364 ; 4-byte Folded Reload
	;; [unrolled: 1-line block ×4, first 2 shown]
	s_mov_b32 s0, 0xb6db6db7
	s_mov_b32 s1, 0x4006db6d
	;; [unrolled: 1-line block ×4, first 2 shown]
	v_mov_b32_e32 v22, 0x3ff00000
	v_mov_b32_e32 v23, 0x7ff00000
	s_waitcnt vmcnt(2)
	v_add_f64 v[2:3], v[48:49], s[0:1]
	v_mul_f64 v[6:7], v[2:3], s[2:3]
	v_rndne_f64_e32 v[6:7], v[6:7]
	s_mov_b32 s0, 0xfca7ab0c
	v_fma_f64 v[10:11], s[4:5], v[6:7], v[2:3]
	s_mov_b32 s1, 0x3e928af3
	v_fmac_f64_e32 v[10:11], s[6:7], v[6:7]
	v_pk_mov_b32 v[8:9], s[0:1], s[0:1] op_sel:[0,1]
	v_fma_f64 v[16:17], s[8:9], v[10:11], v[8:9]
	v_fma_f64 v[16:17], v[10:11], v[16:17], s[14:15]
	;; [unrolled: 1-line block ×9, first 2 shown]
	v_fma_f64 v[16:17], v[10:11], v[16:17], 1.0
	v_fma_f64 v[10:11], v[10:11], v[16:17], 1.0
	v_cvt_i32_f64_e32 v6, v[6:7]
	v_ldexp_f64 v[6:7], v[10:11], v6
	v_add_f64 v[6:7], v[6:7], 1.0
	v_div_scale_f64 v[10:11], s[0:1], v[6:7], v[6:7], 1.0
	v_rcp_f64_e32 v[16:17], v[10:11]
	v_cmp_ngt_f64_e64 s[0:1], s[34:35], v[2:3]
	v_fma_f64 v[26:27], -v[10:11], v[16:17], 1.0
	v_fmac_f64_e32 v[16:17], v[16:17], v[26:27]
	v_fma_f64 v[26:27], -v[10:11], v[16:17], 1.0
	v_fmac_f64_e32 v[16:17], v[16:17], v[26:27]
	v_div_scale_f64 v[26:27], vcc, 1.0, v[6:7], 1.0
	v_mul_f64 v[28:29], v[26:27], v[16:17]
	v_fma_f64 v[10:11], -v[10:11], v[28:29], v[26:27]
	s_nop 1
	v_div_fmas_f64 v[10:11], v[10:11], v[16:17], v[28:29]
	v_div_fixup_f64 v[6:7], v[10:11], v[6:7], 1.0
	v_cmp_nlt_f64_e32 vcc, s[30:31], v[2:3]
	v_cndmask_b32_e32 v7, 0, v7, vcc
	s_and_b64 vcc, s[0:1], vcc
	v_cndmask_b32_e64 v27, v22, v7, s[0:1]
	s_mov_b32 s0, 0
	s_mov_b32 s1, 0x40080000
	s_waitcnt vmcnt(0)
	v_add_f64 v[2:3], v[46:47], s[0:1]
	v_cndmask_b32_e32 v26, 0, v6, vcc
	v_mul_f64 v[6:7], v[2:3], s[2:3]
	v_rndne_f64_e32 v[6:7], v[6:7]
	v_fma_f64 v[10:11], s[4:5], v[6:7], v[2:3]
	v_fmac_f64_e32 v[10:11], s[6:7], v[6:7]
	v_fma_f64 v[16:17], s[8:9], v[10:11], v[8:9]
	v_fma_f64 v[16:17], v[10:11], v[16:17], s[14:15]
	;; [unrolled: 1-line block ×9, first 2 shown]
	v_fma_f64 v[16:17], v[10:11], v[16:17], 1.0
	v_fma_f64 v[10:11], v[10:11], v[16:17], 1.0
	v_cvt_i32_f64_e32 v6, v[6:7]
	v_ldexp_f64 v[6:7], v[10:11], v6
	v_add_f64 v[6:7], v[6:7], 1.0
	v_cmp_nlt_f64_e32 vcc, s[30:31], v[2:3]
	v_cndmask_b32_e32 v7, v23, v7, vcc
	v_cmp_ngt_f64_e64 s[0:1], s[34:35], v[2:3]
	s_and_b64 vcc, s[0:1], vcc
	v_cndmask_b32_e64 v3, v22, v7, s[0:1]
	s_mov_b32 s0, 0
	v_cndmask_b32_e32 v2, 0, v6, vcc
	s_mov_b32 s1, 0x40668000
	v_div_scale_f64 v[6:7], s[36:37], v[2:3], v[2:3], s[0:1]
	v_rcp_f64_e32 v[10:11], v[6:7]
	v_fma_f64 v[16:17], -v[6:7], v[10:11], 1.0
	v_fmac_f64_e32 v[10:11], v[10:11], v[16:17]
	v_fma_f64 v[16:17], -v[6:7], v[10:11], 1.0
	v_fmac_f64_e32 v[10:11], v[10:11], v[16:17]
	v_div_scale_f64 v[16:17], vcc, s[0:1], v[2:3], s[0:1]
	v_mul_f64 v[28:29], v[16:17], v[10:11]
	v_fma_f64 v[6:7], -v[6:7], v[28:29], v[16:17]
	s_nop 1
	v_div_fmas_f64 v[6:7], v[6:7], v[10:11], v[28:29]
	v_div_fixup_f64 v[6:7], v[6:7], v[2:3], s[0:1]
	s_mov_b32 s0, 0
	s_mov_b32 s1, 0x40340000
	v_add_f64 v[6:7], v[6:7], s[0:1]
	s_mov_b32 s0, 0xcccccccd
	s_mov_b32 s1, 0x3ff4cccc
	v_add_f64 v[10:11], -v[46:47], s[0:1]
	v_mul_f64 v[16:17], v[10:11], s[2:3]
	v_rndne_f64_e32 v[16:17], v[16:17]
	v_fma_f64 v[28:29], s[4:5], v[16:17], v[10:11]
	v_fmac_f64_e32 v[28:29], s[6:7], v[16:17]
	v_fma_f64 v[30:31], s[8:9], v[28:29], v[8:9]
	v_fma_f64 v[30:31], v[28:29], v[30:31], s[14:15]
	;; [unrolled: 1-line block ×9, first 2 shown]
	v_fma_f64 v[30:31], v[28:29], v[30:31], 1.0
	v_fma_f64 v[28:29], v[28:29], v[30:31], 1.0
	v_cvt_i32_f64_e32 v16, v[16:17]
	v_ldexp_f64 v[16:17], v[28:29], v16
	s_mov_b32 s0, 0
	v_add_f64 v[16:17], v[16:17], 1.0
	s_mov_b32 s1, 0x40690000
	v_div_scale_f64 v[28:29], s[36:37], v[16:17], v[16:17], s[0:1]
	v_rcp_f64_e32 v[30:31], v[28:29]
	v_fma_f64 v[34:35], -v[28:29], v[30:31], 1.0
	v_fmac_f64_e32 v[30:31], v[30:31], v[34:35]
	v_fma_f64 v[34:35], -v[28:29], v[30:31], 1.0
	v_fmac_f64_e32 v[30:31], v[30:31], v[34:35]
	v_div_scale_f64 v[34:35], vcc, s[0:1], v[16:17], s[0:1]
	v_mul_f64 v[38:39], v[34:35], v[30:31]
	v_fma_f64 v[28:29], -v[28:29], v[38:39], v[34:35]
	s_nop 1
	v_div_fmas_f64 v[28:29], v[28:29], v[30:31], v[38:39]
	v_div_fixup_f64 v[16:17], v[28:29], v[16:17], s[0:1]
	v_cmp_nlt_f64_e32 vcc, s[30:31], v[10:11]
	v_cndmask_b32_e32 v17, 0, v17, vcc
	v_cmp_ngt_f64_e64 s[0:1], s[34:35], v[10:11]
	v_mov_b32_e32 v11, 0x40690000
	s_and_b64 vcc, s[0:1], vcc
	v_cndmask_b32_e64 v11, v11, v17, s[0:1]
	s_mov_b32 s0, 0
	v_cndmask_b32_e32 v10, 0, v16, vcc
	s_mov_b32 s1, 0x403b0000
	v_add_f64 v[10:11], v[10:11], v[6:7]
	v_add_f64 v[6:7], v[4:5], s[0:1]
	s_mov_b32 s0, 0
	v_mul_f64 v[6:7], v[6:7], -v[6:7]
	s_mov_b32 s1, 0x406c2000
	v_div_scale_f64 v[16:17], s[36:37], s[0:1], s[0:1], v[6:7]
	v_rcp_f64_e32 v[28:29], v[16:17]
	v_fma_f64 v[30:31], -v[16:17], v[28:29], 1.0
	v_fmac_f64_e32 v[28:29], v[28:29], v[30:31]
	v_fma_f64 v[30:31], -v[16:17], v[28:29], 1.0
	v_fmac_f64_e32 v[28:29], v[28:29], v[30:31]
	v_div_scale_f64 v[30:31], vcc, v[6:7], s[0:1], v[6:7]
	v_mul_f64 v[34:35], v[30:31], v[28:29]
	v_fma_f64 v[16:17], -v[16:17], v[34:35], v[30:31]
	s_nop 1
	v_div_fmas_f64 v[16:17], v[16:17], v[28:29], v[34:35]
	v_div_fixup_f64 v[16:17], v[16:17], s[0:1], v[6:7]
	v_mul_f64 v[28:29], v[16:17], s[2:3]
	v_rndne_f64_e32 v[28:29], v[28:29]
	v_fma_f64 v[30:31], s[4:5], v[28:29], v[16:17]
	v_fmac_f64_e32 v[30:31], s[6:7], v[28:29]
	v_fmac_f64_e32 v[8:9], s[8:9], v[30:31]
	v_fma_f64 v[8:9], v[30:31], v[8:9], s[14:15]
	v_fma_f64 v[8:9], v[30:31], v[8:9], s[16:17]
	v_fma_f64 v[8:9], v[30:31], v[8:9], s[18:19]
	v_fma_f64 v[8:9], v[30:31], v[8:9], s[20:21]
	v_fma_f64 v[8:9], v[30:31], v[8:9], s[22:23]
	v_fma_f64 v[8:9], v[30:31], v[8:9], s[24:25]
	v_fma_f64 v[8:9], v[30:31], v[8:9], s[26:27]
	v_fma_f64 v[8:9], v[30:31], v[8:9], s[28:29]
	v_fma_f64 v[8:9], v[30:31], v[8:9], 1.0
	v_fma_f64 v[8:9], v[30:31], v[8:9], 1.0
	v_cvt_i32_f64_e32 v22, v[28:29]
	s_mov_b32 s0, 0
	v_ldexp_f64 v[8:9], v[8:9], v22
	s_mov_b32 s1, 0x40913a00
	v_mul_f64 v[8:9], v[8:9], s[0:1]
	v_cmp_nlt_f64_e32 vcc, s[30:31], v[16:17]
	v_cmp_ngt_f64_e64 s[0:1], s[34:35], v[16:17]
	v_cndmask_b32_e32 v9, v23, v9, vcc
	s_and_b64 vcc, s[0:1], vcc
	v_cndmask_b32_e32 v8, 0, v8, vcc
	v_cndmask_b32_e64 v9, 0, v9, s[0:1]
	v_add_f64 v[10:11], v[8:9], v[10:11]
	v_add_f64 v[8:9], v[26:27], -v[60:61]
	v_div_scale_f64 v[16:17], s[0:1], v[10:11], v[10:11], v[8:9]
	v_rcp_f64_e32 v[26:27], v[16:17]
	v_fma_f64 v[28:29], -v[16:17], v[26:27], 1.0
	v_fmac_f64_e32 v[26:27], v[26:27], v[28:29]
	v_fma_f64 v[28:29], -v[16:17], v[26:27], 1.0
	v_fmac_f64_e32 v[26:27], v[26:27], v[28:29]
	v_div_scale_f64 v[28:29], vcc, v[8:9], v[10:11], v[8:9]
	v_mul_f64 v[30:31], v[28:29], v[26:27]
	v_fma_f64 v[16:17], -v[16:17], v[30:31], v[28:29]
	s_nop 1
	v_div_fmas_f64 v[16:17], v[16:17], v[26:27], v[30:31]
	v_div_fixup_f64 v[8:9], v[16:17], v[10:11], v[8:9]
	v_div_scale_f64 v[16:17], s[0:1], v[10:11], v[10:11], -1.0
	v_rcp_f64_e32 v[26:27], v[16:17]
	s_mov_b32 s0, 0xe2308c3a
	s_mov_b32 s1, 0x3e45798e
	v_fma_f64 v[28:29], -v[16:17], v[26:27], 1.0
	v_fmac_f64_e32 v[26:27], v[26:27], v[28:29]
	v_fma_f64 v[28:29], -v[16:17], v[26:27], 1.0
	v_fmac_f64_e32 v[26:27], v[26:27], v[28:29]
	v_div_scale_f64 v[28:29], vcc, -1.0, v[10:11], -1.0
	v_mul_f64 v[30:31], v[28:29], v[26:27]
	v_fma_f64 v[16:17], -v[16:17], v[30:31], v[28:29]
                                        ; implicit-def: $vgpr28_vgpr29
	s_nop 1
	v_div_fmas_f64 v[16:17], v[16:17], v[26:27], v[30:31]
	v_div_fixup_f64 v[26:27], v[16:17], v[10:11], -1.0
	v_cmp_ngt_f64_e64 s[0:1], |v[26:27]|, s[0:1]
	s_and_saveexec_b64 s[2:3], s[0:1]
	s_xor_b64 s[0:1], exec, s[2:3]
; %bb.38:
	v_mul_f64 v[28:29], v[8:9], s[12:13]
                                        ; implicit-def: $vgpr26_vgpr27
                                        ; implicit-def: $vgpr8_vgpr9
; %bb.39:
	s_andn2_saveexec_b64 s[2:3], s[0:1]
	s_cbranch_execz .LBB0_41
; %bb.40:
	s_mov_b32 s0, 0x652b82fe
	v_mul_f64 v[10:11], v[26:27], s[12:13]
	s_mov_b32 s1, 0x3ff71547
	v_mul_f64 v[16:17], v[10:11], s[0:1]
	s_mov_b32 s0, 0xfefa39ef
	v_rndne_f64_e32 v[16:17], v[16:17]
	s_mov_b32 s1, 0xbfe62e42
	v_fma_f64 v[28:29], s[0:1], v[16:17], v[10:11]
	s_mov_b32 s0, 0x3b39803f
	s_mov_b32 s1, 0xbc7abc9e
	v_fmac_f64_e32 v[28:29], s[0:1], v[16:17]
	s_mov_b32 s0, 0x6a5dcb37
	v_mov_b32_e32 v30, 0xfca7ab0c
	v_mov_b32_e32 v31, 0x3e928af3
	s_mov_b32 s1, 0x3e5ade15
	v_fmac_f64_e32 v[30:31], s[0:1], v[28:29]
	v_mov_b32_e32 v34, 0x623fde64
	v_mov_b32_e32 v35, 0x3ec71dee
	v_fmac_f64_e32 v[34:35], v[28:29], v[30:31]
	v_mov_b32_e32 v30, 0x7c89e6b0
	v_mov_b32_e32 v31, 0x3efa0199
	;; [unrolled: 3-line block ×8, first 2 shown]
	v_fmac_f64_e32 v[30:31], v[28:29], v[34:35]
	s_mov_b32 s0, 0
	v_fma_f64 v[30:31], v[28:29], v[30:31], 1.0
	s_mov_b32 s1, 0x40900000
	v_fma_f64 v[28:29], v[28:29], v[30:31], 1.0
	v_cvt_i32_f64_e32 v16, v[16:17]
	v_cmp_nlt_f64_e32 vcc, s[0:1], v[10:11]
	s_mov_b32 s0, 0
	v_ldexp_f64 v[16:17], v[28:29], v16
	s_mov_b32 s1, 0xc090cc00
	v_add_f64 v[16:17], v[16:17], -1.0
	v_mov_b32_e32 v22, 0x7ff00000
	v_cmp_ngt_f64_e64 s[0:1], s[0:1], v[10:11]
	v_cndmask_b32_e32 v17, v22, v17, vcc
	v_mov_b32_e32 v22, 0xbff00000
	s_and_b64 vcc, s[0:1], vcc
	v_cndmask_b32_e64 v11, v22, v17, s[0:1]
	v_cndmask_b32_e32 v10, 0, v16, vcc
	v_mul_f64 v[8:9], v[8:9], v[10:11]
	v_div_scale_f64 v[10:11], s[0:1], v[26:27], v[26:27], v[8:9]
	v_rcp_f64_e32 v[16:17], v[10:11]
	v_fma_f64 v[28:29], -v[10:11], v[16:17], 1.0
	v_fmac_f64_e32 v[16:17], v[16:17], v[28:29]
	v_fma_f64 v[28:29], -v[10:11], v[16:17], 1.0
	v_fmac_f64_e32 v[16:17], v[16:17], v[28:29]
	v_div_scale_f64 v[28:29], vcc, v[8:9], v[26:27], v[8:9]
	v_mul_f64 v[30:31], v[28:29], v[16:17]
	v_fma_f64 v[10:11], -v[10:11], v[30:31], v[28:29]
	s_nop 1
	v_div_fmas_f64 v[10:11], v[10:11], v[16:17], v[30:31]
	v_div_fixup_f64 v[28:29], v[10:11], v[26:27], v[8:9]
.LBB0_41:
	s_or_b64 exec, exec, s[2:3]
	s_mov_b32 s0, 0
	s_mov_b32 s1, 0x40140000
	;; [unrolled: 1-line block ×3, first 2 shown]
	v_add_f64 v[8:9], v[60:61], v[28:29]
	v_add_f64 v[10:11], v[48:49], s[0:1]
	s_mov_b32 s3, 0x3ff71547
	global_store_dwordx2 v[88:89], v[8:9], off
	v_mul_f64 v[8:9], v[10:11], s[2:3]
	v_rndne_f64_e32 v[16:17], v[8:9]
	s_mov_b32 s0, 0xfca7ab0c
	v_fma_f64 v[26:27], s[4:5], v[16:17], v[10:11]
	s_mov_b32 s1, 0x3e928af3
	v_fmac_f64_e32 v[26:27], s[6:7], v[16:17]
	v_pk_mov_b32 v[8:9], s[0:1], s[0:1] op_sel:[0,1]
	v_fma_f64 v[28:29], s[8:9], v[26:27], v[8:9]
	v_fma_f64 v[28:29], v[26:27], v[28:29], s[14:15]
	;; [unrolled: 1-line block ×9, first 2 shown]
	v_fma_f64 v[28:29], v[26:27], v[28:29], 1.0
	v_fma_f64 v[26:27], v[26:27], v[28:29], 1.0
	v_cvt_i32_f64_e32 v16, v[16:17]
	v_ldexp_f64 v[16:17], v[26:27], v16
	s_mov_b32 s0, 0xd70a3d71
	v_add_f64 v[16:17], v[16:17], 1.0
	s_mov_b32 s1, 0x3fe570a3
	v_div_scale_f64 v[26:27], s[30:31], v[16:17], v[16:17], s[0:1]
	v_rcp_f64_e32 v[28:29], v[26:27]
	s_mov_b32 s30, 0
	s_mov_b32 s31, 0x40900000
	v_mov_b32_e32 v22, 0x51eb851f
	v_fma_f64 v[30:31], -v[26:27], v[28:29], 1.0
	v_fmac_f64_e32 v[28:29], v[28:29], v[30:31]
	v_fma_f64 v[30:31], -v[26:27], v[28:29], 1.0
	v_fmac_f64_e32 v[28:29], v[28:29], v[30:31]
	v_div_scale_f64 v[30:31], vcc, s[0:1], v[16:17], s[0:1]
	v_mul_f64 v[34:35], v[30:31], v[28:29]
	v_fma_f64 v[26:27], -v[26:27], v[34:35], v[30:31]
	s_nop 1
	v_div_fmas_f64 v[26:27], v[26:27], v[28:29], v[34:35]
	v_div_fixup_f64 v[16:17], v[26:27], v[16:17], s[0:1]
	s_mov_b32 s0, 0x51eb851f
	s_mov_b32 s1, 0x3fd51eb8
	v_add_f64 v[16:17], v[16:17], s[0:1]
	v_cmp_nlt_f64_e32 vcc, s[30:31], v[10:11]
	v_cndmask_b32_e32 v16, v22, v16, vcc
	v_mov_b32_e32 v22, 0x3fd51eb8
	s_mov_b32 s0, 0
	v_cndmask_b32_e32 v17, v22, v17, vcc
	v_cmp_ngt_f64_e32 vcc, s[34:35], v[10:11]
	v_mov_b32_e32 v10, 0x3ff00000
	s_mov_b32 s1, 0x40040000
	v_cndmask_b32_e32 v27, v10, v17, vcc
	v_add_f64 v[10:11], -v[46:47], s[0:1]
	v_cndmask_b32_e32 v26, 0, v16, vcc
	v_mul_f64 v[16:17], v[10:11], s[2:3]
	v_rndne_f64_e32 v[16:17], v[16:17]
	v_fma_f64 v[28:29], s[4:5], v[16:17], v[10:11]
	v_fmac_f64_e32 v[28:29], s[6:7], v[16:17]
	v_fma_f64 v[30:31], s[8:9], v[28:29], v[8:9]
	v_fma_f64 v[30:31], v[28:29], v[30:31], s[14:15]
	;; [unrolled: 1-line block ×9, first 2 shown]
	v_fma_f64 v[30:31], v[28:29], v[30:31], 1.0
	v_fma_f64 v[28:29], v[28:29], v[30:31], 1.0
	v_cvt_i32_f64_e32 v16, v[16:17]
	v_ldexp_f64 v[16:17], v[28:29], v16
	s_mov_b32 s0, 0
	v_add_f64 v[16:17], v[16:17], 1.0
	s_mov_b32 s1, 0x403f0000
	v_div_scale_f64 v[28:29], s[36:37], v[16:17], v[16:17], s[0:1]
	v_rcp_f64_e32 v[30:31], v[28:29]
	v_fma_f64 v[34:35], -v[28:29], v[30:31], 1.0
	v_fmac_f64_e32 v[30:31], v[30:31], v[34:35]
	v_fma_f64 v[34:35], -v[28:29], v[30:31], 1.0
	v_fmac_f64_e32 v[30:31], v[30:31], v[34:35]
	v_div_scale_f64 v[34:35], vcc, s[0:1], v[16:17], s[0:1]
	v_mul_f64 v[38:39], v[34:35], v[30:31]
	v_fma_f64 v[28:29], -v[28:29], v[38:39], v[34:35]
	s_nop 1
	v_div_fmas_f64 v[28:29], v[28:29], v[30:31], v[38:39]
	v_div_fixup_f64 v[16:17], v[28:29], v[16:17], s[0:1]
	v_cmp_nlt_f64_e32 vcc, s[30:31], v[10:11]
	v_cndmask_b32_e32 v17, 0, v17, vcc
	v_cmp_ngt_f64_e64 s[0:1], s[34:35], v[10:11]
	v_mov_b32_e32 v11, 0x403f0000
	s_and_b64 vcc, s[0:1], vcc
	v_cndmask_b32_e64 v11, v11, v17, s[0:1]
	s_mov_b32 s0, 0
	s_mov_b32 s1, 0x40540000
	v_cndmask_b32_e32 v10, 0, v16, vcc
	v_div_scale_f64 v[16:17], s[36:37], v[2:3], v[2:3], s[0:1]
	v_rcp_f64_e32 v[28:29], v[16:17]
	v_fma_f64 v[30:31], -v[16:17], v[28:29], 1.0
	v_fmac_f64_e32 v[28:29], v[28:29], v[30:31]
	v_fma_f64 v[30:31], -v[16:17], v[28:29], 1.0
	v_fmac_f64_e32 v[28:29], v[28:29], v[30:31]
	v_div_scale_f64 v[30:31], vcc, s[0:1], v[2:3], s[0:1]
	v_mul_f64 v[34:35], v[30:31], v[28:29]
	v_fma_f64 v[16:17], -v[16:17], v[34:35], v[30:31]
	s_nop 1
	v_div_fmas_f64 v[16:17], v[16:17], v[28:29], v[34:35]
	v_div_fixup_f64 v[2:3], v[16:17], v[2:3], s[0:1]
	s_mov_b32 s0, 0
	s_mov_b32 s1, 0x406e0000
	v_add_f64 v[2:3], v[10:11], v[2:3]
	v_div_scale_f64 v[10:11], s[36:37], s[0:1], s[0:1], v[6:7]
	v_rcp_f64_e32 v[16:17], v[10:11]
	v_fma_f64 v[28:29], -v[10:11], v[16:17], 1.0
	v_fmac_f64_e32 v[16:17], v[16:17], v[28:29]
	v_fma_f64 v[28:29], -v[10:11], v[16:17], 1.0
	v_fmac_f64_e32 v[16:17], v[16:17], v[28:29]
	v_div_scale_f64 v[28:29], vcc, v[6:7], s[0:1], v[6:7]
	v_mul_f64 v[30:31], v[28:29], v[16:17]
	v_fma_f64 v[10:11], -v[10:11], v[30:31], v[28:29]
	s_nop 1
	v_div_fmas_f64 v[10:11], v[10:11], v[16:17], v[30:31]
	v_div_fixup_f64 v[6:7], v[10:11], s[0:1], v[6:7]
	v_mul_f64 v[10:11], v[6:7], s[2:3]
	v_rndne_f64_e32 v[10:11], v[10:11]
	v_fma_f64 v[16:17], s[4:5], v[10:11], v[6:7]
	v_fmac_f64_e32 v[16:17], s[6:7], v[10:11]
	v_fmac_f64_e32 v[8:9], s[8:9], v[16:17]
	v_fma_f64 v[8:9], v[16:17], v[8:9], s[14:15]
	v_fma_f64 v[8:9], v[16:17], v[8:9], s[16:17]
	v_fma_f64 v[8:9], v[16:17], v[8:9], s[18:19]
	v_fma_f64 v[8:9], v[16:17], v[8:9], s[20:21]
	v_fma_f64 v[8:9], v[16:17], v[8:9], s[22:23]
	v_fma_f64 v[8:9], v[16:17], v[8:9], s[24:25]
	v_fma_f64 v[8:9], v[16:17], v[8:9], s[26:27]
	v_fma_f64 v[8:9], v[16:17], v[8:9], s[28:29]
	v_fma_f64 v[8:9], v[16:17], v[8:9], 1.0
	v_fma_f64 v[8:9], v[16:17], v[8:9], 1.0
	v_cvt_i32_f64_e32 v10, v[10:11]
	s_mov_b32 s0, 0
	v_ldexp_f64 v[8:9], v[8:9], v10
	s_mov_b32 s1, 0x40819000
	v_mul_f64 v[8:9], v[8:9], s[0:1]
	v_cmp_nlt_f64_e32 vcc, s[30:31], v[6:7]
	v_mov_b32_e32 v10, 0x7ff00000
	v_cmp_ngt_f64_e64 s[0:1], s[34:35], v[6:7]
	v_cndmask_b32_e32 v9, v10, v9, vcc
	s_and_b64 vcc, s[0:1], vcc
	v_cndmask_b32_e32 v6, 0, v8, vcc
	v_cndmask_b32_e64 v7, 0, v9, s[0:1]
	v_add_f64 v[6:7], v[6:7], v[2:3]
	v_add_f64 v[2:3], v[26:27], -v[62:63]
	v_div_scale_f64 v[8:9], s[0:1], v[6:7], v[6:7], v[2:3]
	v_rcp_f64_e32 v[10:11], v[8:9]
	v_fma_f64 v[16:17], -v[8:9], v[10:11], 1.0
	v_fmac_f64_e32 v[10:11], v[10:11], v[16:17]
	v_fma_f64 v[16:17], -v[8:9], v[10:11], 1.0
	v_fmac_f64_e32 v[10:11], v[10:11], v[16:17]
	v_div_scale_f64 v[16:17], vcc, v[2:3], v[6:7], v[2:3]
	v_mul_f64 v[26:27], v[16:17], v[10:11]
	v_fma_f64 v[8:9], -v[8:9], v[26:27], v[16:17]
	s_nop 1
	v_div_fmas_f64 v[8:9], v[8:9], v[10:11], v[26:27]
	v_div_fixup_f64 v[2:3], v[8:9], v[6:7], v[2:3]
	v_div_scale_f64 v[8:9], s[0:1], v[6:7], v[6:7], -1.0
	v_rcp_f64_e32 v[10:11], v[8:9]
	s_mov_b32 s0, 0xe2308c3a
	s_mov_b32 s1, 0x3e45798e
	v_fma_f64 v[16:17], -v[8:9], v[10:11], 1.0
	v_fmac_f64_e32 v[10:11], v[10:11], v[16:17]
	v_fma_f64 v[16:17], -v[8:9], v[10:11], 1.0
	v_fmac_f64_e32 v[10:11], v[10:11], v[16:17]
	v_div_scale_f64 v[16:17], vcc, -1.0, v[6:7], -1.0
	v_mul_f64 v[26:27], v[16:17], v[10:11]
	v_fma_f64 v[8:9], -v[8:9], v[26:27], v[16:17]
	s_nop 1
	v_div_fmas_f64 v[8:9], v[8:9], v[10:11], v[26:27]
	v_div_fixup_f64 v[6:7], v[8:9], v[6:7], -1.0
	v_cmp_ngt_f64_e64 s[0:1], |v[6:7]|, s[0:1]
                                        ; implicit-def: $vgpr8_vgpr9
	s_and_saveexec_b64 s[2:3], s[0:1]
	s_xor_b64 s[0:1], exec, s[2:3]
; %bb.42:
	v_mul_f64 v[8:9], v[2:3], s[12:13]
                                        ; implicit-def: $vgpr6_vgpr7
                                        ; implicit-def: $vgpr2_vgpr3
; %bb.43:
	s_andn2_saveexec_b64 s[2:3], s[0:1]
	s_cbranch_execz .LBB0_45
; %bb.44:
	s_mov_b32 s0, 0x652b82fe
	v_mul_f64 v[8:9], v[6:7], s[12:13]
	s_mov_b32 s1, 0x3ff71547
	v_mul_f64 v[10:11], v[8:9], s[0:1]
	s_mov_b32 s0, 0xfefa39ef
	v_rndne_f64_e32 v[10:11], v[10:11]
	s_mov_b32 s1, 0xbfe62e42
	v_fma_f64 v[16:17], s[0:1], v[10:11], v[8:9]
	s_mov_b32 s0, 0x3b39803f
	s_mov_b32 s1, 0xbc7abc9e
	v_fmac_f64_e32 v[16:17], s[0:1], v[10:11]
	s_mov_b32 s0, 0x6a5dcb37
	v_mov_b32_e32 v26, 0xfca7ab0c
	v_mov_b32_e32 v27, 0x3e928af3
	s_mov_b32 s1, 0x3e5ade15
	v_fmac_f64_e32 v[26:27], s[0:1], v[16:17]
	v_mov_b32_e32 v28, 0x623fde64
	v_mov_b32_e32 v29, 0x3ec71dee
	v_fmac_f64_e32 v[28:29], v[16:17], v[26:27]
	v_mov_b32_e32 v26, 0x7c89e6b0
	v_mov_b32_e32 v27, 0x3efa0199
	;; [unrolled: 3-line block ×8, first 2 shown]
	v_fmac_f64_e32 v[26:27], v[16:17], v[28:29]
	s_mov_b32 s0, 0
	v_fma_f64 v[26:27], v[16:17], v[26:27], 1.0
	s_mov_b32 s1, 0x40900000
	v_fma_f64 v[16:17], v[16:17], v[26:27], 1.0
	v_cvt_i32_f64_e32 v10, v[10:11]
	v_cmp_nlt_f64_e32 vcc, s[0:1], v[8:9]
	s_mov_b32 s0, 0
	v_ldexp_f64 v[10:11], v[16:17], v10
	s_mov_b32 s1, 0xc090cc00
	v_add_f64 v[10:11], v[10:11], -1.0
	v_mov_b32_e32 v16, 0x7ff00000
	v_cmp_ngt_f64_e64 s[0:1], s[0:1], v[8:9]
	v_cndmask_b32_e32 v11, v16, v11, vcc
	v_mov_b32_e32 v16, 0xbff00000
	s_and_b64 vcc, s[0:1], vcc
	v_cndmask_b32_e64 v9, v16, v11, s[0:1]
	v_cndmask_b32_e32 v8, 0, v10, vcc
	v_mul_f64 v[2:3], v[2:3], v[8:9]
	v_div_scale_f64 v[8:9], s[0:1], v[6:7], v[6:7], v[2:3]
	v_rcp_f64_e32 v[10:11], v[8:9]
	v_fma_f64 v[16:17], -v[8:9], v[10:11], 1.0
	v_fmac_f64_e32 v[10:11], v[10:11], v[16:17]
	v_fma_f64 v[16:17], -v[8:9], v[10:11], 1.0
	v_fmac_f64_e32 v[10:11], v[10:11], v[16:17]
	v_div_scale_f64 v[16:17], vcc, v[2:3], v[6:7], v[2:3]
	v_mul_f64 v[26:27], v[16:17], v[10:11]
	v_fma_f64 v[8:9], -v[8:9], v[26:27], v[16:17]
	s_nop 1
	v_div_fmas_f64 v[8:9], v[8:9], v[10:11], v[26:27]
	v_div_fixup_f64 v[8:9], v[8:9], v[6:7], v[2:3]
.LBB0_45:
	s_or_b64 exec, exec, s[2:3]
	s_mov_b32 s0, 0
	v_add_f64 v[2:3], v[62:63], v[8:9]
	v_mul_f64 v[112:113], v[68:69], v[68:69]
	s_mov_b32 s1, 0x40790000
	global_store_dwordx2 v[86:87], v[2:3], off
	v_fma_f64 v[2:3], v[112:113], s[0:1], 1.0
	s_mov_b32 s0, 0x33333333
	s_mov_b32 s1, 0x3fe33333
	v_div_scale_f64 v[6:7], s[2:3], v[2:3], v[2:3], s[0:1]
	v_rcp_f64_e32 v[8:9], v[6:7]
	v_fma_f64 v[10:11], -v[6:7], v[8:9], 1.0
	v_fmac_f64_e32 v[8:9], v[8:9], v[10:11]
	v_fma_f64 v[10:11], -v[6:7], v[8:9], 1.0
	v_fmac_f64_e32 v[8:9], v[8:9], v[10:11]
	v_div_scale_f64 v[10:11], vcc, s[0:1], v[2:3], s[0:1]
	v_mul_f64 v[16:17], v[10:11], v[8:9]
	v_fma_f64 v[6:7], -v[6:7], v[16:17], v[10:11]
	s_nop 1
	v_div_fmas_f64 v[6:7], v[6:7], v[8:9], v[16:17]
	v_div_fixup_f64 v[6:7], v[6:7], v[2:3], s[0:1]
	s_mov_b32 s0, 0x9999999a
	s_mov_b32 s1, 0x3fd99999
	v_add_f64 v[6:7], v[6:7], s[0:1]
	s_mov_b32 s0, 0
	s_mov_b32 s1, 0x40540000
	v_div_scale_f64 v[8:9], s[2:3], v[2:3], v[2:3], s[0:1]
	v_rcp_f64_e32 v[10:11], v[8:9]
	v_fma_f64 v[16:17], -v[8:9], v[10:11], 1.0
	v_fmac_f64_e32 v[10:11], v[10:11], v[16:17]
	v_fma_f64 v[16:17], -v[8:9], v[10:11], 1.0
	v_fmac_f64_e32 v[10:11], v[10:11], v[16:17]
	v_div_scale_f64 v[16:17], vcc, s[0:1], v[2:3], s[0:1]
	v_mul_f64 v[26:27], v[16:17], v[10:11]
	v_fma_f64 v[8:9], -v[8:9], v[26:27], v[16:17]
	s_nop 1
	v_div_fmas_f64 v[8:9], v[8:9], v[10:11], v[26:27]
	v_div_fixup_f64 v[2:3], v[8:9], v[2:3], s[0:1]
	v_add_f64 v[8:9], v[2:3], 2.0
	v_add_f64 v[2:3], v[6:7], -v[64:65]
	v_div_scale_f64 v[6:7], s[0:1], v[8:9], v[8:9], v[2:3]
	v_rcp_f64_e32 v[10:11], v[6:7]
	v_fma_f64 v[16:17], -v[6:7], v[10:11], 1.0
	v_fmac_f64_e32 v[10:11], v[10:11], v[16:17]
	v_fma_f64 v[16:17], -v[6:7], v[10:11], 1.0
	v_fmac_f64_e32 v[10:11], v[10:11], v[16:17]
	v_div_scale_f64 v[16:17], vcc, v[2:3], v[8:9], v[2:3]
	v_mul_f64 v[26:27], v[16:17], v[10:11]
	v_fma_f64 v[6:7], -v[6:7], v[26:27], v[16:17]
	s_nop 1
	v_div_fmas_f64 v[6:7], v[6:7], v[10:11], v[26:27]
	v_div_fixup_f64 v[2:3], v[6:7], v[8:9], v[2:3]
	v_div_scale_f64 v[6:7], s[0:1], v[8:9], v[8:9], -1.0
	v_rcp_f64_e32 v[10:11], v[6:7]
	s_mov_b32 s0, 0xe2308c3a
	s_mov_b32 s1, 0x3e45798e
	v_fma_f64 v[16:17], -v[6:7], v[10:11], 1.0
	v_fmac_f64_e32 v[10:11], v[10:11], v[16:17]
	v_fma_f64 v[16:17], -v[6:7], v[10:11], 1.0
	v_fmac_f64_e32 v[10:11], v[10:11], v[16:17]
	v_div_scale_f64 v[16:17], vcc, -1.0, v[8:9], -1.0
	v_mul_f64 v[26:27], v[16:17], v[10:11]
	v_fma_f64 v[6:7], -v[6:7], v[26:27], v[16:17]
	s_nop 1
	v_div_fmas_f64 v[6:7], v[6:7], v[10:11], v[26:27]
	v_div_fixup_f64 v[6:7], v[6:7], v[8:9], -1.0
	v_cmp_ngt_f64_e64 s[0:1], |v[6:7]|, s[0:1]
                                        ; implicit-def: $vgpr8_vgpr9
	s_and_saveexec_b64 s[2:3], s[0:1]
	s_xor_b64 s[0:1], exec, s[2:3]
; %bb.46:
	v_mul_f64 v[8:9], v[2:3], s[12:13]
                                        ; implicit-def: $vgpr6_vgpr7
                                        ; implicit-def: $vgpr2_vgpr3
; %bb.47:
	s_andn2_saveexec_b64 s[2:3], s[0:1]
	s_cbranch_execz .LBB0_49
; %bb.48:
	s_mov_b32 s0, 0x652b82fe
	v_mul_f64 v[8:9], v[6:7], s[12:13]
	s_mov_b32 s1, 0x3ff71547
	v_mul_f64 v[10:11], v[8:9], s[0:1]
	s_mov_b32 s0, 0xfefa39ef
	v_rndne_f64_e32 v[10:11], v[10:11]
	s_mov_b32 s1, 0xbfe62e42
	v_fma_f64 v[16:17], s[0:1], v[10:11], v[8:9]
	s_mov_b32 s0, 0x3b39803f
	s_mov_b32 s1, 0xbc7abc9e
	v_fmac_f64_e32 v[16:17], s[0:1], v[10:11]
	s_mov_b32 s0, 0x6a5dcb37
	v_mov_b32_e32 v26, 0xfca7ab0c
	v_mov_b32_e32 v27, 0x3e928af3
	s_mov_b32 s1, 0x3e5ade15
	v_fmac_f64_e32 v[26:27], s[0:1], v[16:17]
	v_mov_b32_e32 v28, 0x623fde64
	v_mov_b32_e32 v29, 0x3ec71dee
	v_fmac_f64_e32 v[28:29], v[16:17], v[26:27]
	v_mov_b32_e32 v26, 0x7c89e6b0
	v_mov_b32_e32 v27, 0x3efa0199
	;; [unrolled: 3-line block ×8, first 2 shown]
	v_fmac_f64_e32 v[26:27], v[16:17], v[28:29]
	s_mov_b32 s0, 0
	v_fma_f64 v[26:27], v[16:17], v[26:27], 1.0
	s_mov_b32 s1, 0x40900000
	v_fma_f64 v[16:17], v[16:17], v[26:27], 1.0
	v_cvt_i32_f64_e32 v10, v[10:11]
	v_cmp_nlt_f64_e32 vcc, s[0:1], v[8:9]
	s_mov_b32 s0, 0
	v_ldexp_f64 v[10:11], v[16:17], v10
	s_mov_b32 s1, 0xc090cc00
	v_add_f64 v[10:11], v[10:11], -1.0
	v_mov_b32_e32 v16, 0x7ff00000
	v_cmp_ngt_f64_e64 s[0:1], s[0:1], v[8:9]
	v_cndmask_b32_e32 v11, v16, v11, vcc
	v_mov_b32_e32 v16, 0xbff00000
	s_and_b64 vcc, s[0:1], vcc
	v_cndmask_b32_e64 v9, v16, v11, s[0:1]
	v_cndmask_b32_e32 v8, 0, v10, vcc
	v_mul_f64 v[2:3], v[2:3], v[8:9]
	v_div_scale_f64 v[8:9], s[0:1], v[6:7], v[6:7], v[2:3]
	v_rcp_f64_e32 v[10:11], v[8:9]
	v_fma_f64 v[16:17], -v[8:9], v[10:11], 1.0
	v_fmac_f64_e32 v[10:11], v[10:11], v[16:17]
	v_fma_f64 v[16:17], -v[8:9], v[10:11], 1.0
	v_fmac_f64_e32 v[10:11], v[10:11], v[16:17]
	v_div_scale_f64 v[16:17], vcc, v[2:3], v[6:7], v[2:3]
	v_mul_f64 v[26:27], v[16:17], v[10:11]
	v_fma_f64 v[8:9], -v[8:9], v[26:27], v[16:17]
	s_nop 1
	v_div_fmas_f64 v[8:9], v[8:9], v[10:11], v[26:27]
	v_div_fixup_f64 v[8:9], v[8:9], v[6:7], v[2:3]
.LBB0_49:
	s_or_b64 exec, exec, s[2:3]
	s_mov_b32 s2, 0x652b82fe
	v_add_f64 v[2:3], v[64:65], v[8:9]
	v_add_f64 v[6:7], v[0:1], 4.0
	s_mov_b32 s3, 0x3ff71547
	global_store_dwordx2 v[82:83], v[2:3], off
	v_mul_f64 v[2:3], v[6:7], s[2:3]
	v_rndne_f64_e32 v[8:9], v[2:3]
	s_mov_b32 s0, 0xfca7ab0c
	v_fma_f64 v[10:11], s[4:5], v[8:9], v[6:7]
	s_mov_b32 s1, 0x3e928af3
	v_fmac_f64_e32 v[10:11], s[6:7], v[8:9]
	v_pk_mov_b32 v[2:3], s[0:1], s[0:1] op_sel:[0,1]
	v_fma_f64 v[16:17], s[8:9], v[10:11], v[2:3]
	v_fma_f64 v[16:17], v[10:11], v[16:17], s[14:15]
	v_fma_f64 v[16:17], v[10:11], v[16:17], s[16:17]
	v_fma_f64 v[16:17], v[10:11], v[16:17], s[18:19]
	v_fma_f64 v[16:17], v[10:11], v[16:17], s[20:21]
	v_fma_f64 v[16:17], v[10:11], v[16:17], s[22:23]
	v_fma_f64 v[16:17], v[10:11], v[16:17], s[24:25]
	v_fma_f64 v[16:17], v[10:11], v[16:17], s[26:27]
	v_fma_f64 v[16:17], v[10:11], v[16:17], s[28:29]
	v_fma_f64 v[16:17], v[10:11], v[16:17], 1.0
	v_fma_f64 v[10:11], v[10:11], v[16:17], 1.0
	v_cvt_i32_f64_e32 v8, v[8:9]
	v_ldexp_f64 v[8:9], v[10:11], v8
	v_add_f64 v[8:9], v[8:9], 1.0
	v_div_scale_f64 v[10:11], s[0:1], v[8:9], v[8:9], 1.0
	v_rcp_f64_e32 v[16:17], v[10:11]
	s_mov_b32 s34, 0
	s_mov_b32 s30, 0
	s_mov_b32 s35, 0x40900000
	v_fma_f64 v[26:27], -v[10:11], v[16:17], 1.0
	v_fmac_f64_e32 v[16:17], v[16:17], v[26:27]
	v_fma_f64 v[26:27], -v[10:11], v[16:17], 1.0
	v_fmac_f64_e32 v[16:17], v[16:17], v[26:27]
	v_div_scale_f64 v[26:27], vcc, 1.0, v[8:9], 1.0
	v_mul_f64 v[28:29], v[26:27], v[16:17]
	v_fma_f64 v[10:11], -v[10:11], v[28:29], v[26:27]
	s_mov_b32 s31, 0xc090cc00
	s_nop 0
	v_div_fmas_f64 v[10:11], v[10:11], v[16:17], v[28:29]
	v_div_fixup_f64 v[8:9], v[10:11], v[8:9], 1.0
	v_cmp_nlt_f64_e32 vcc, s[34:35], v[6:7]
	v_cmp_ngt_f64_e64 s[0:1], s[30:31], v[6:7]
	v_cndmask_b32_e32 v9, 0, v9, vcc
	s_and_b64 vcc, s[0:1], vcc
	v_mov_b32_e32 v7, 0x3ff00000
	v_add_f64 v[0:1], v[0:1], -4.0
	v_cndmask_b32_e32 v6, 0, v8, vcc
	v_cndmask_b32_e64 v7, v7, v9, s[0:1]
	v_mul_f64 v[8:9], v[0:1], s[2:3]
	v_rndne_f64_e32 v[8:9], v[8:9]
	v_fma_f64 v[10:11], s[4:5], v[8:9], v[0:1]
	v_fmac_f64_e32 v[10:11], s[6:7], v[8:9]
	v_fma_f64 v[16:17], s[8:9], v[10:11], v[2:3]
	v_fma_f64 v[16:17], v[10:11], v[16:17], s[14:15]
	;; [unrolled: 1-line block ×9, first 2 shown]
	v_fma_f64 v[16:17], v[10:11], v[16:17], 1.0
	v_fma_f64 v[10:11], v[10:11], v[16:17], 1.0
	v_cvt_i32_f64_e32 v8, v[8:9]
	v_ldexp_f64 v[8:9], v[10:11], v8
	s_mov_b32 s0, 0
	v_add_f64 v[8:9], v[8:9], 1.0
	s_mov_b32 s1, 0x40140000
	v_div_scale_f64 v[10:11], s[36:37], v[8:9], v[8:9], s[0:1]
	v_rcp_f64_e32 v[16:17], v[10:11]
	v_fma_f64 v[26:27], -v[10:11], v[16:17], 1.0
	v_fmac_f64_e32 v[16:17], v[16:17], v[26:27]
	v_fma_f64 v[26:27], -v[10:11], v[16:17], 1.0
	v_fmac_f64_e32 v[16:17], v[16:17], v[26:27]
	v_div_scale_f64 v[26:27], vcc, s[0:1], v[8:9], s[0:1]
	v_mul_f64 v[28:29], v[26:27], v[16:17]
	v_fma_f64 v[10:11], -v[10:11], v[28:29], v[26:27]
	s_nop 1
	v_div_fmas_f64 v[10:11], v[10:11], v[16:17], v[28:29]
	v_div_fixup_f64 v[8:9], v[10:11], v[8:9], s[0:1]
	s_mov_b32 s0, 0
	s_mov_b32 s1, 0x40080000
	v_add_f64 v[8:9], v[8:9], s[0:1]
	v_cmp_nlt_f64_e32 vcc, s[34:35], v[0:1]
	v_mov_b32_e32 v10, 0x40080000
	v_cndmask_b32_e32 v9, v10, v9, vcc
	v_cmp_ngt_f64_e64 s[0:1], s[30:31], v[0:1]
	v_mov_b32_e32 v1, 0x40200000
	s_and_b64 vcc, s[0:1], vcc
	v_cndmask_b32_e64 v1, v1, v9, s[0:1]
	s_mov_b32 s0, 0
	s_mov_b32 s1, 0x40468000
	v_cndmask_b32_e32 v0, 0, v8, vcc
	v_add_f64 v[8:9], v[4:5], s[0:1]
	s_mov_b32 s0, 0
	v_mul_f64 v[8:9], v[8:9], v[8:9]
	s_mov_b32 s1, 0xc0740000
	v_div_scale_f64 v[10:11], s[36:37], s[0:1], s[0:1], v[8:9]
	v_rcp_f64_e32 v[16:17], v[10:11]
	v_fma_f64 v[26:27], -v[10:11], v[16:17], 1.0
	v_fmac_f64_e32 v[16:17], v[16:17], v[26:27]
	v_fma_f64 v[26:27], -v[10:11], v[16:17], 1.0
	v_fmac_f64_e32 v[16:17], v[16:17], v[26:27]
	v_div_scale_f64 v[26:27], vcc, v[8:9], s[0:1], v[8:9]
	v_mul_f64 v[28:29], v[26:27], v[16:17]
	v_fma_f64 v[10:11], -v[10:11], v[28:29], v[26:27]
	s_nop 1
	v_div_fmas_f64 v[10:11], v[10:11], v[16:17], v[28:29]
	v_div_fixup_f64 v[8:9], v[10:11], s[0:1], v[8:9]
	v_mul_f64 v[10:11], v[8:9], s[2:3]
	v_rndne_f64_e32 v[10:11], v[10:11]
	v_fma_f64 v[16:17], s[4:5], v[10:11], v[8:9]
	v_fmac_f64_e32 v[16:17], s[6:7], v[10:11]
	v_fmac_f64_e32 v[2:3], s[8:9], v[16:17]
	v_fma_f64 v[2:3], v[16:17], v[2:3], s[14:15]
	v_fma_f64 v[2:3], v[16:17], v[2:3], s[16:17]
	;; [unrolled: 1-line block ×8, first 2 shown]
	v_fma_f64 v[2:3], v[16:17], v[2:3], 1.0
	v_fma_f64 v[2:3], v[16:17], v[2:3], 1.0
	v_cvt_i32_f64_e32 v10, v[10:11]
	s_mov_b32 s0, 0
	v_ldexp_f64 v[2:3], v[2:3], v10
	s_mov_b32 s1, 0x40554000
	v_mul_f64 v[2:3], v[2:3], s[0:1]
	v_cmp_nlt_f64_e32 vcc, s[34:35], v[8:9]
	v_mov_b32_e32 v10, 0x7ff00000
	v_cmp_ngt_f64_e64 s[0:1], s[30:31], v[8:9]
	v_cndmask_b32_e32 v3, v10, v3, vcc
	s_and_b64 vcc, s[0:1], vcc
	v_cndmask_b32_e32 v2, 0, v2, vcc
	v_cndmask_b32_e64 v3, 0, v3, s[0:1]
	v_add_f64 v[2:3], v[2:3], v[0:1]
	v_add_f64 v[0:1], v[6:7], -v[18:19]
	v_div_scale_f64 v[6:7], s[0:1], v[2:3], v[2:3], v[0:1]
	v_rcp_f64_e32 v[8:9], v[6:7]
	v_fma_f64 v[10:11], -v[6:7], v[8:9], 1.0
	v_fmac_f64_e32 v[8:9], v[8:9], v[10:11]
	v_fma_f64 v[10:11], -v[6:7], v[8:9], 1.0
	v_fmac_f64_e32 v[8:9], v[8:9], v[10:11]
	v_div_scale_f64 v[10:11], vcc, v[0:1], v[2:3], v[0:1]
	v_mul_f64 v[16:17], v[10:11], v[8:9]
	v_fma_f64 v[6:7], -v[6:7], v[16:17], v[10:11]
	s_nop 1
	v_div_fmas_f64 v[6:7], v[6:7], v[8:9], v[16:17]
	v_div_fixup_f64 v[0:1], v[6:7], v[2:3], v[0:1]
	v_div_scale_f64 v[6:7], s[0:1], v[2:3], v[2:3], -1.0
	v_rcp_f64_e32 v[8:9], v[6:7]
	s_mov_b32 s0, 0xe2308c3a
	s_mov_b32 s1, 0x3e45798e
	v_fma_f64 v[10:11], -v[6:7], v[8:9], 1.0
	v_fmac_f64_e32 v[8:9], v[8:9], v[10:11]
	v_fma_f64 v[10:11], -v[6:7], v[8:9], 1.0
	v_fmac_f64_e32 v[8:9], v[8:9], v[10:11]
	v_div_scale_f64 v[10:11], vcc, -1.0, v[2:3], -1.0
	v_mul_f64 v[16:17], v[10:11], v[8:9]
	v_fma_f64 v[6:7], -v[6:7], v[16:17], v[10:11]
	s_nop 1
	v_div_fmas_f64 v[6:7], v[6:7], v[8:9], v[16:17]
	v_div_fixup_f64 v[2:3], v[6:7], v[2:3], -1.0
	v_cmp_ngt_f64_e64 s[0:1], |v[2:3]|, s[0:1]
                                        ; implicit-def: $vgpr6_vgpr7
	s_and_saveexec_b64 s[2:3], s[0:1]
	s_xor_b64 s[0:1], exec, s[2:3]
; %bb.50:
	v_mul_f64 v[6:7], v[0:1], s[12:13]
                                        ; implicit-def: $vgpr2_vgpr3
                                        ; implicit-def: $vgpr0_vgpr1
; %bb.51:
	s_andn2_saveexec_b64 s[2:3], s[0:1]
	s_cbranch_execz .LBB0_53
; %bb.52:
	s_mov_b32 s0, 0x652b82fe
	v_mul_f64 v[6:7], v[2:3], s[12:13]
	s_mov_b32 s1, 0x3ff71547
	v_mul_f64 v[8:9], v[6:7], s[0:1]
	s_mov_b32 s0, 0xfefa39ef
	v_rndne_f64_e32 v[8:9], v[8:9]
	s_mov_b32 s1, 0xbfe62e42
	v_fma_f64 v[10:11], s[0:1], v[8:9], v[6:7]
	s_mov_b32 s0, 0x3b39803f
	s_mov_b32 s1, 0xbc7abc9e
	v_fmac_f64_e32 v[10:11], s[0:1], v[8:9]
	s_mov_b32 s0, 0x6a5dcb37
	v_mov_b32_e32 v16, 0xfca7ab0c
	v_mov_b32_e32 v17, 0x3e928af3
	s_mov_b32 s1, 0x3e5ade15
	v_fmac_f64_e32 v[16:17], s[0:1], v[10:11]
	v_mov_b32_e32 v26, 0x623fde64
	v_mov_b32_e32 v27, 0x3ec71dee
	v_fmac_f64_e32 v[26:27], v[10:11], v[16:17]
	v_mov_b32_e32 v16, 0x7c89e6b0
	v_mov_b32_e32 v17, 0x3efa0199
	;; [unrolled: 3-line block ×8, first 2 shown]
	v_fmac_f64_e32 v[16:17], v[10:11], v[26:27]
	s_mov_b32 s0, 0
	v_fma_f64 v[16:17], v[10:11], v[16:17], 1.0
	s_mov_b32 s1, 0x40900000
	v_fma_f64 v[10:11], v[10:11], v[16:17], 1.0
	v_cvt_i32_f64_e32 v8, v[8:9]
	v_cmp_nlt_f64_e32 vcc, s[0:1], v[6:7]
	s_mov_b32 s0, 0
	v_ldexp_f64 v[8:9], v[10:11], v8
	s_mov_b32 s1, 0xc090cc00
	v_add_f64 v[8:9], v[8:9], -1.0
	v_mov_b32_e32 v10, 0x7ff00000
	v_cmp_ngt_f64_e64 s[0:1], s[0:1], v[6:7]
	v_cndmask_b32_e32 v9, v10, v9, vcc
	v_mov_b32_e32 v10, 0xbff00000
	s_and_b64 vcc, s[0:1], vcc
	v_cndmask_b32_e64 v7, v10, v9, s[0:1]
	v_cndmask_b32_e32 v6, 0, v8, vcc
	v_mul_f64 v[0:1], v[0:1], v[6:7]
	v_div_scale_f64 v[6:7], s[0:1], v[2:3], v[2:3], v[0:1]
	v_rcp_f64_e32 v[8:9], v[6:7]
	v_fma_f64 v[10:11], -v[6:7], v[8:9], 1.0
	v_fmac_f64_e32 v[8:9], v[8:9], v[10:11]
	v_fma_f64 v[10:11], -v[6:7], v[8:9], 1.0
	v_fmac_f64_e32 v[8:9], v[8:9], v[10:11]
	v_div_scale_f64 v[10:11], vcc, v[0:1], v[2:3], v[0:1]
	v_mul_f64 v[16:17], v[10:11], v[8:9]
	v_fma_f64 v[6:7], -v[6:7], v[16:17], v[10:11]
	s_nop 1
	v_div_fmas_f64 v[6:7], v[6:7], v[8:9], v[16:17]
	v_div_fixup_f64 v[6:7], v[6:7], v[2:3], v[0:1]
.LBB0_53:
	s_or_b64 exec, exec, s[2:3]
	s_mov_b32 s0, 0xaaaaaaab
	v_add_f64 v[0:1], v[18:19], v[6:7]
	s_mov_b32 s1, 0x400aaaaa
	s_mov_b32 s2, 0x652b82fe
	global_store_dwordx2 v[70:71], v[0:1], off
	v_add_f64 v[0:1], -v[56:57], s[0:1]
	s_mov_b32 s3, 0x3ff71547
	v_mul_f64 v[2:3], v[0:1], s[2:3]
	v_rndne_f64_e32 v[2:3], v[2:3]
	s_mov_b32 s0, 0xfca7ab0c
	v_fma_f64 v[6:7], s[4:5], v[2:3], v[0:1]
	s_mov_b32 s1, 0x3e928af3
	v_fmac_f64_e32 v[6:7], s[6:7], v[2:3]
	v_pk_mov_b32 v[8:9], s[0:1], s[0:1] op_sel:[0,1]
	v_fma_f64 v[10:11], s[8:9], v[6:7], v[8:9]
	v_fma_f64 v[10:11], v[6:7], v[10:11], s[14:15]
	;; [unrolled: 1-line block ×9, first 2 shown]
	v_fma_f64 v[10:11], v[6:7], v[10:11], 1.0
	v_fma_f64 v[6:7], v[6:7], v[10:11], 1.0
	v_cvt_i32_f64_e32 v2, v[2:3]
	v_ldexp_f64 v[2:3], v[6:7], v2
	v_add_f64 v[2:3], v[2:3], 1.0
	v_div_scale_f64 v[6:7], s[0:1], v[2:3], v[2:3], 1.0
	v_rcp_f64_e32 v[10:11], v[6:7]
	s_mov_b32 s30, 0
	s_mov_b32 s31, 0x40900000
	s_mov_b32 s34, 0
	v_fma_f64 v[16:17], -v[6:7], v[10:11], 1.0
	v_fmac_f64_e32 v[10:11], v[10:11], v[16:17]
	v_fma_f64 v[16:17], -v[6:7], v[10:11], 1.0
	v_fmac_f64_e32 v[10:11], v[10:11], v[16:17]
	v_div_scale_f64 v[16:17], vcc, 1.0, v[2:3], 1.0
	v_mul_f64 v[26:27], v[16:17], v[10:11]
	v_fma_f64 v[6:7], -v[6:7], v[26:27], v[16:17]
	s_mov_b32 s35, 0xc090cc00
	s_nop 0
	v_div_fmas_f64 v[6:7], v[6:7], v[10:11], v[26:27]
	v_div_fixup_f64 v[2:3], v[6:7], v[2:3], 1.0
	v_cmp_nlt_f64_e32 vcc, s[30:31], v[0:1]
	v_cndmask_b32_e32 v3, 0, v3, vcc
	v_cmp_ngt_f64_e64 s[0:1], s[34:35], v[0:1]
	v_mov_b32_e32 v1, 0x3ff00000
	s_and_b64 vcc, s[0:1], vcc
	v_cndmask_b32_e64 v1, v1, v3, s[0:1]
	s_mov_b32 s0, 0
	s_mov_b32 s1, 0x40440000
	v_cndmask_b32_e32 v0, 0, v2, vcc
	v_add_f64 v[2:3], v[4:5], s[0:1]
	s_mov_b32 s0, 0
	v_mul_f64 v[2:3], v[2:3], v[2:3]
	s_mov_b32 s1, 0xc09c2000
	v_div_scale_f64 v[6:7], s[36:37], s[0:1], s[0:1], v[2:3]
	v_rcp_f64_e32 v[10:11], v[6:7]
	v_add_f64 v[0:1], v[0:1], -v[52:53]
	v_fma_f64 v[16:17], -v[6:7], v[10:11], 1.0
	v_fmac_f64_e32 v[10:11], v[10:11], v[16:17]
	v_fma_f64 v[16:17], -v[6:7], v[10:11], 1.0
	v_fmac_f64_e32 v[10:11], v[10:11], v[16:17]
	v_div_scale_f64 v[16:17], vcc, v[2:3], s[0:1], v[2:3]
	v_mul_f64 v[26:27], v[16:17], v[10:11]
	v_fma_f64 v[6:7], -v[6:7], v[26:27], v[16:17]
	s_nop 1
	v_div_fmas_f64 v[6:7], v[6:7], v[10:11], v[26:27]
	v_div_fixup_f64 v[2:3], v[6:7], s[0:1], v[2:3]
	v_mul_f64 v[6:7], v[2:3], s[2:3]
	v_rndne_f64_e32 v[6:7], v[6:7]
	v_fma_f64 v[10:11], s[4:5], v[6:7], v[2:3]
	v_fmac_f64_e32 v[10:11], s[6:7], v[6:7]
	v_fmac_f64_e32 v[8:9], s[8:9], v[10:11]
	v_fma_f64 v[8:9], v[10:11], v[8:9], s[14:15]
	v_fma_f64 v[8:9], v[10:11], v[8:9], s[16:17]
	;; [unrolled: 1-line block ×8, first 2 shown]
	v_fma_f64 v[8:9], v[10:11], v[8:9], 1.0
	v_fma_f64 v[8:9], v[10:11], v[8:9], 1.0
	v_cvt_i32_f64_e32 v6, v[6:7]
	v_ldexp_f64 v[6:7], v[8:9], v6
	v_mov_b32_e32 v8, 0x9999999a
	v_mov_b32_e32 v9, 0x3fe99999
	v_pk_mov_b32 v[10:11], v[8:9], v[8:9] op_sel:[0,1]
	v_fmac_f64_e32 v[10:11], 0x40230000, v[6:7]
	v_cmp_nlt_f64_e32 vcc, s[30:31], v[2:3]
	v_mov_b32_e32 v7, 0x7ff00000
	v_cndmask_b32_e32 v6, 0, v10, vcc
	v_cndmask_b32_e32 v7, v7, v11, vcc
	v_cmp_ngt_f64_e32 vcc, s[34:35], v[2:3]
	v_cndmask_b32_e32 v7, v9, v7, vcc
	v_cndmask_b32_e32 v6, v8, v6, vcc
	v_div_scale_f64 v[2:3], s[0:1], v[6:7], v[6:7], v[0:1]
	v_rcp_f64_e32 v[8:9], v[2:3]
	v_fma_f64 v[10:11], -v[2:3], v[8:9], 1.0
	v_fmac_f64_e32 v[8:9], v[8:9], v[10:11]
	v_fma_f64 v[10:11], -v[2:3], v[8:9], 1.0
	v_fmac_f64_e32 v[8:9], v[8:9], v[10:11]
	v_div_scale_f64 v[10:11], vcc, v[0:1], v[6:7], v[0:1]
	v_mul_f64 v[16:17], v[10:11], v[8:9]
	v_fma_f64 v[2:3], -v[2:3], v[16:17], v[10:11]
	s_nop 1
	v_div_fmas_f64 v[2:3], v[2:3], v[8:9], v[16:17]
	v_div_fixup_f64 v[2:3], v[2:3], v[6:7], v[0:1]
	v_div_scale_f64 v[0:1], s[0:1], v[6:7], v[6:7], -1.0
	v_rcp_f64_e32 v[8:9], v[0:1]
	s_mov_b32 s0, 0xe2308c3a
	s_mov_b32 s1, 0x3e45798e
	v_fma_f64 v[10:11], -v[0:1], v[8:9], 1.0
	v_fmac_f64_e32 v[8:9], v[8:9], v[10:11]
	v_fma_f64 v[10:11], -v[0:1], v[8:9], 1.0
	v_fmac_f64_e32 v[8:9], v[8:9], v[10:11]
	v_div_scale_f64 v[10:11], vcc, -1.0, v[6:7], -1.0
	v_mul_f64 v[16:17], v[10:11], v[8:9]
	v_fma_f64 v[0:1], -v[0:1], v[16:17], v[10:11]
	s_nop 1
	v_div_fmas_f64 v[0:1], v[0:1], v[8:9], v[16:17]
	v_div_fixup_f64 v[6:7], v[0:1], v[6:7], -1.0
	v_cmp_ngt_f64_e64 s[0:1], |v[6:7]|, s[0:1]
                                        ; implicit-def: $vgpr0_vgpr1
	s_and_saveexec_b64 s[2:3], s[0:1]
	s_xor_b64 s[0:1], exec, s[2:3]
; %bb.54:
	v_mul_f64 v[0:1], v[2:3], s[12:13]
                                        ; implicit-def: $vgpr6_vgpr7
                                        ; implicit-def: $vgpr2_vgpr3
; %bb.55:
	s_andn2_saveexec_b64 s[2:3], s[0:1]
	s_cbranch_execz .LBB0_57
; %bb.56:
	s_mov_b32 s0, 0x652b82fe
	v_mul_f64 v[0:1], v[6:7], s[12:13]
	s_mov_b32 s1, 0x3ff71547
	v_mul_f64 v[8:9], v[0:1], s[0:1]
	s_mov_b32 s0, 0xfefa39ef
	v_rndne_f64_e32 v[8:9], v[8:9]
	s_mov_b32 s1, 0xbfe62e42
	v_fma_f64 v[10:11], s[0:1], v[8:9], v[0:1]
	s_mov_b32 s0, 0x3b39803f
	s_mov_b32 s1, 0xbc7abc9e
	v_fmac_f64_e32 v[10:11], s[0:1], v[8:9]
	s_mov_b32 s0, 0x6a5dcb37
	v_mov_b32_e32 v16, 0xfca7ab0c
	v_mov_b32_e32 v17, 0x3e928af3
	s_mov_b32 s1, 0x3e5ade15
	v_fmac_f64_e32 v[16:17], s[0:1], v[10:11]
	v_mov_b32_e32 v26, 0x623fde64
	v_mov_b32_e32 v27, 0x3ec71dee
	v_fmac_f64_e32 v[26:27], v[10:11], v[16:17]
	v_mov_b32_e32 v16, 0x7c89e6b0
	v_mov_b32_e32 v17, 0x3efa0199
	;; [unrolled: 3-line block ×8, first 2 shown]
	v_fmac_f64_e32 v[16:17], v[10:11], v[26:27]
	s_mov_b32 s0, 0
	v_fma_f64 v[16:17], v[10:11], v[16:17], 1.0
	s_mov_b32 s1, 0x40900000
	v_fma_f64 v[10:11], v[10:11], v[16:17], 1.0
	v_cvt_i32_f64_e32 v8, v[8:9]
	v_cmp_nlt_f64_e32 vcc, s[0:1], v[0:1]
	s_mov_b32 s0, 0
	v_ldexp_f64 v[8:9], v[10:11], v8
	s_mov_b32 s1, 0xc090cc00
	v_add_f64 v[8:9], v[8:9], -1.0
	v_mov_b32_e32 v10, 0x7ff00000
	v_cmp_ngt_f64_e64 s[0:1], s[0:1], v[0:1]
	v_cndmask_b32_e32 v9, v10, v9, vcc
	v_mov_b32_e32 v10, 0xbff00000
	s_and_b64 vcc, s[0:1], vcc
	v_cndmask_b32_e64 v1, v10, v9, s[0:1]
	v_cndmask_b32_e32 v0, 0, v8, vcc
	v_mul_f64 v[0:1], v[2:3], v[0:1]
	v_div_scale_f64 v[2:3], s[0:1], v[6:7], v[6:7], v[0:1]
	v_rcp_f64_e32 v[8:9], v[2:3]
	v_fma_f64 v[10:11], -v[2:3], v[8:9], 1.0
	v_fmac_f64_e32 v[8:9], v[8:9], v[10:11]
	v_fma_f64 v[10:11], -v[2:3], v[8:9], 1.0
	v_fmac_f64_e32 v[8:9], v[8:9], v[10:11]
	v_div_scale_f64 v[10:11], vcc, v[0:1], v[6:7], v[0:1]
	v_mul_f64 v[16:17], v[10:11], v[8:9]
	v_fma_f64 v[2:3], -v[2:3], v[16:17], v[10:11]
	s_nop 1
	v_div_fmas_f64 v[2:3], v[2:3], v[8:9], v[16:17]
	v_div_fixup_f64 v[0:1], v[2:3], v[6:7], v[0:1]
.LBB0_57:
	s_or_b64 exec, exec, s[2:3]
	buffer_load_dword v38, off, s[56:59], 0 offset:32 ; 4-byte Folded Reload
	buffer_load_dword v39, off, s[56:59], 0 offset:36 ; 4-byte Folded Reload
	;; [unrolled: 1-line block ×4, first 2 shown]
	v_div_scale_f64 v[2:3], s[0:1], v[42:43], v[42:43], v[54:55]
	v_rcp_f64_e32 v[6:7], v[2:3]
	s_mov_b32 s0, 0x55555555
	buffer_load_dword v104, off, s[56:59], 0 offset:72 ; 4-byte Folded Reload
	buffer_load_dword v105, off, s[56:59], 0 offset:76 ; 4-byte Folded Reload
	s_mov_b32 s1, 0x3fe55555
	v_fma_f64 v[8:9], -v[2:3], v[6:7], 1.0
	v_fmac_f64_e32 v[6:7], v[6:7], v[8:9]
	v_fma_f64 v[8:9], -v[2:3], v[6:7], 1.0
	v_fmac_f64_e32 v[6:7], v[6:7], v[8:9]
	v_div_scale_f64 v[8:9], vcc, v[54:55], v[42:43], v[54:55]
	v_mul_f64 v[10:11], v[8:9], v[6:7]
	v_fma_f64 v[2:3], -v[2:3], v[10:11], v[8:9]
	buffer_store_dword v52, off, s[56:59], 0 offset:176 ; 4-byte Folded Spill
	s_nop 0
	buffer_store_dword v53, off, s[56:59], 0 offset:180 ; 4-byte Folded Spill
	v_div_fmas_f64 v[2:3], v[2:3], v[6:7], v[10:11]
	v_div_fixup_f64 v[2:3], v[2:3], v[42:43], v[54:55]
	v_frexp_mant_f64_e32 v[6:7], v[2:3]
	v_cmp_gt_f64_e32 vcc, s[0:1], v[6:7]
	v_mov_b32_e32 v8, 0x3ff00000
	v_cndmask_b32_e64 v9, v8, 2.0, vcc
	v_mov_b32_e32 v8, 0
	v_frexp_exp_i32_f64_e32 v10, v[2:3]
	v_mul_f64 v[6:7], v[6:7], v[8:9]
	v_subbrev_co_u32_e32 v22, vcc, 0, v10, vcc
	v_add_f64 v[10:11], v[6:7], 1.0
	v_add_f64 v[16:17], v[10:11], -1.0
	v_add_f64 v[8:9], v[6:7], -1.0
	v_add_f64 v[6:7], v[6:7], -v[16:17]
	v_rcp_f64_e32 v[16:17], v[10:11]
	s_mov_b32 s0, 0xbf559e2b
	s_mov_b32 s1, 0x3fc3ab76
	;; [unrolled: 1-line block ×3, first 2 shown]
	v_fma_f64 v[26:27], -v[10:11], v[16:17], 1.0
	v_fmac_f64_e32 v[16:17], v[26:27], v[16:17]
	v_fma_f64 v[26:27], -v[10:11], v[16:17], 1.0
	v_fmac_f64_e32 v[16:17], v[26:27], v[16:17]
	v_mul_f64 v[26:27], v[8:9], v[16:17]
	v_mul_f64 v[30:31], v[10:11], v[26:27]
	v_fma_f64 v[10:11], v[26:27], v[10:11], -v[30:31]
	v_fmac_f64_e32 v[10:11], v[26:27], v[6:7]
	v_add_f64 v[6:7], v[30:31], v[10:11]
	v_add_f64 v[34:35], v[8:9], -v[6:7]
	v_add_f64 v[30:31], v[6:7], -v[30:31]
	;; [unrolled: 1-line block ×5, first 2 shown]
	v_add_f64 v[6:7], v[8:9], v[6:7]
	v_add_f64 v[6:7], v[34:35], v[6:7]
	v_mul_f64 v[6:7], v[16:17], v[6:7]
	v_add_f64 v[8:9], v[26:27], v[6:7]
	v_add_f64 v[10:11], v[8:9], -v[26:27]
	v_add_f64 v[6:7], v[6:7], -v[10:11]
	v_mul_f64 v[10:11], v[8:9], v[8:9]
	v_mov_b32_e32 v16, 0x6b47b09a
	v_mov_b32_e32 v17, 0x3fc38538
	v_fmac_f64_e32 v[16:17], s[0:1], v[10:11]
	v_mov_b32_e32 v26, 0xd7f4df2e
	v_mov_b32_e32 v27, 0x3fc7474d
	v_fmac_f64_e32 v[26:27], v[10:11], v[16:17]
	;; [unrolled: 3-line block ×6, first 2 shown]
	v_ldexp_f64 v[16:17], v[8:9], 1
	v_mul_f64 v[8:9], v[8:9], v[10:11]
	v_mul_f64 v[8:9], v[8:9], v[26:27]
	v_add_f64 v[10:11], v[16:17], v[8:9]
	v_add_f64 v[16:17], v[10:11], -v[16:17]
	v_ldexp_f64 v[6:7], v[6:7], 1
	v_add_f64 v[8:9], v[8:9], -v[16:17]
	v_add_f64 v[6:7], v[6:7], v[8:9]
	v_add_f64 v[8:9], v[10:11], v[6:7]
	v_add_f64 v[10:11], v[8:9], -v[10:11]
	v_add_f64 v[6:7], v[6:7], -v[10:11]
	v_cvt_f64_i32_e32 v[10:11], v22
	s_mov_b32 s2, 0xfefa39ef
	v_mul_f64 v[16:17], v[10:11], s[2:3]
	v_fma_f64 v[26:27], v[10:11], s[2:3], -v[16:17]
	s_mov_b32 s5, 0x3c7abc9e
	s_mov_b32 s4, 0x3b39803f
	v_fmac_f64_e32 v[26:27], s[4:5], v[10:11]
	v_add_f64 v[10:11], v[16:17], v[26:27]
	v_add_f64 v[16:17], v[10:11], -v[16:17]
	v_add_f64 v[16:17], v[26:27], -v[16:17]
	v_add_f64 v[26:27], v[10:11], v[8:9]
	v_add_f64 v[30:31], v[26:27], -v[10:11]
	v_add_f64 v[34:35], v[26:27], -v[30:31]
	;; [unrolled: 1-line block ×4, first 2 shown]
	v_add_f64 v[8:9], v[8:9], v[10:11]
	v_add_f64 v[10:11], v[16:17], v[6:7]
	v_add_f64 v[30:31], v[10:11], -v[16:17]
	v_add_f64 v[34:35], v[10:11], -v[30:31]
	v_add_f64 v[8:9], v[10:11], v[8:9]
	v_add_f64 v[16:17], v[16:17], -v[34:35]
	v_add_f64 v[6:7], v[6:7], -v[30:31]
	v_add_f64 v[10:11], v[26:27], v[8:9]
	v_add_f64 v[6:7], v[6:7], v[16:17]
	v_add_f64 v[16:17], v[10:11], -v[26:27]
	v_add_f64 v[8:9], v[8:9], -v[16:17]
	v_add_f64 v[6:7], v[6:7], v[8:9]
	s_movk_i32 s0, 0x204
	v_add_f64 v[6:7], v[10:11], v[6:7]
	v_cmp_class_f64_e64 vcc, v[2:3], s0
	v_cndmask_b32_e32 v6, v6, v2, vcc
	v_cndmask_b32_e32 v7, v7, v3, vcc
	v_cmp_ngt_f64_e32 vcc, 0, v[2:3]
	v_mov_b32_e32 v8, 0x7ff80000
	v_cndmask_b32_e32 v7, v8, v7, vcc
	v_cmp_nge_f64_e32 vcc, 0, v[2:3]
	v_cndmask_b32_e32 v6, 0, v6, vcc
	v_cmp_neq_f64_e32 vcc, 0, v[2:3]
	v_mov_b32_e32 v2, 0xfff00000
	v_cndmask_b32_e32 v7, v2, v7, vcc
	s_waitcnt vmcnt(6)
	v_mul_f64 v[2:3], v[38:39], -0.5
	s_waitcnt vmcnt(4)
	v_mul_f64 v[124:125], v[2:3], v[46:47]
	v_mul_f64 v[2:3], v[124:125], v[6:7]
	v_div_scale_f64 v[6:7], s[0:1], v[20:21], v[20:21], v[2:3]
	v_rcp_f64_e32 v[8:9], v[6:7]
	v_add_f64 v[0:1], v[52:53], v[0:1]
	global_store_dwordx2 v[58:59], v[0:1], off
	v_mul_f64 v[28:29], v[38:39], v[46:47]
	v_fma_f64 v[10:11], -v[6:7], v[8:9], 1.0
	v_fmac_f64_e32 v[8:9], v[8:9], v[10:11]
	v_fma_f64 v[10:11], -v[6:7], v[8:9], 1.0
	v_fmac_f64_e32 v[8:9], v[8:9], v[10:11]
	v_div_scale_f64 v[10:11], vcc, v[2:3], v[20:21], v[2:3]
	v_mul_f64 v[16:17], v[10:11], v[8:9]
	v_fma_f64 v[6:7], -v[6:7], v[16:17], v[10:11]
	s_mov_b32 s6, 0x652b82fe
	s_nop 0
	v_div_fmas_f64 v[6:7], v[6:7], v[8:9], v[16:17]
	v_div_fixup_f64 v[2:3], v[6:7], v[20:21], v[2:3]
	v_add_f64 v[2:3], v[4:5], v[2:3]
	s_waitcnt vmcnt(3)
	v_mul_f64 v[88:89], v[104:105], v[2:3]
	v_mul_f64 v[2:3], v[72:73], v[72:73]
	;; [unrolled: 1-line block ×3, first 2 shown]
	buffer_store_dword v0, off, s[56:59], 0 offset:368 ; 4-byte Folded Spill
	s_nop 0
	buffer_store_dword v1, off, s[56:59], 0 offset:372 ; 4-byte Folded Spill
	buffer_load_dword v34, off, s[56:59], 0 offset:96 ; 4-byte Folded Reload
	buffer_load_dword v35, off, s[56:59], 0 offset:100 ; 4-byte Folded Reload
	s_mov_b32 s7, 0x3ff71547
	s_mov_b32 s3, 0xbfe62e42
	;; [unrolled: 1-line block ×3, first 2 shown]
	v_mov_b32_e32 v22, 0x7ff00000
	buffer_load_dword v122, off, s[56:59], 0 offset:88 ; 4-byte Folded Reload
	buffer_load_dword v123, off, s[56:59], 0 offset:92 ; 4-byte Folded Reload
	v_mul_f64 v[70:71], v[100:101], v[100:101]
	v_mul_f64 v[58:59], v[42:43], v[42:43]
	v_add_f64 v[56:57], v[42:43], v[40:41]
	v_mul_f64 v[100:101], v[56:57], v[56:57]
	v_add_f64 v[126:127], v[120:121], -v[42:43]
	v_add_f64 v[46:47], v[20:21], v[20:21]
	v_mul_f64 v[0:1], v[0:1], v[54:55]
	s_waitcnt vmcnt(2)
	v_mul_f64 v[6:7], v[34:35], v[20:21]
	v_mul_f64 v[6:7], v[4:5], v[6:7]
	v_div_scale_f64 v[8:9], s[0:1], v[28:29], v[28:29], v[6:7]
	v_rcp_f64_e32 v[10:11], v[8:9]
	s_mov_b32 s0, 0xfca7ab0c
	s_mov_b32 s1, 0x3e928af3
	v_fma_f64 v[16:17], -v[8:9], v[10:11], 1.0
	v_fmac_f64_e32 v[10:11], v[10:11], v[16:17]
	v_fma_f64 v[16:17], -v[8:9], v[10:11], 1.0
	v_fmac_f64_e32 v[10:11], v[10:11], v[16:17]
	v_div_scale_f64 v[16:17], vcc, v[6:7], v[28:29], v[6:7]
	v_mul_f64 v[26:27], v[16:17], v[10:11]
	v_fma_f64 v[8:9], -v[8:9], v[26:27], v[16:17]
	v_pk_mov_b32 v[16:17], s[0:1], s[0:1] op_sel:[0,1]
	s_nop 0
	v_div_fmas_f64 v[8:9], v[8:9], v[10:11], v[26:27]
	v_div_fixup_f64 v[6:7], v[8:9], v[28:29], v[6:7]
	v_mul_f64 v[8:9], v[6:7], s[6:7]
	v_rndne_f64_e32 v[8:9], v[8:9]
	v_fma_f64 v[10:11], s[2:3], v[8:9], v[6:7]
	v_fmac_f64_e32 v[10:11], s[4:5], v[8:9]
	v_fma_f64 v[26:27], s[8:9], v[10:11], v[16:17]
	v_fma_f64 v[26:27], v[10:11], v[26:27], s[14:15]
	;; [unrolled: 1-line block ×9, first 2 shown]
	v_fma_f64 v[26:27], v[10:11], v[26:27], 1.0
	v_fma_f64 v[10:11], v[10:11], v[26:27], 1.0
	v_cvt_i32_f64_e32 v8, v[8:9]
	v_ldexp_f64 v[8:9], v[10:11], v8
	v_cmp_nlt_f64_e32 vcc, s[30:31], v[6:7]
	v_cmp_ngt_f64_e64 s[0:1], s[34:35], v[6:7]
	v_cndmask_b32_e32 v9, v22, v9, vcc
	s_and_b64 vcc, s[0:1], vcc
	v_cndmask_b32_e32 v38, 0, v8, vcc
	v_cndmask_b32_e64 v39, 0, v9, s[0:1]
	v_add_f64 v[8:9], v[34:35], -1.0
	buffer_store_dword v8, off, s[56:59], 0 offset:360 ; 4-byte Folded Spill
	s_nop 0
	buffer_store_dword v9, off, s[56:59], 0 offset:364 ; 4-byte Folded Spill
	v_mul_f64 v[6:7], v[84:85], v[84:85]
	v_mul_f64 v[30:31], v[84:85], v[6:7]
	s_waitcnt vmcnt(2)
	v_mul_f64 v[6:7], v[122:123], v[30:31]
	v_mul_f64 v[6:7], v[42:43], v[6:7]
	;; [unrolled: 1-line block ×4, first 2 shown]
	v_div_scale_f64 v[10:11], s[0:1], v[28:29], v[28:29], v[8:9]
	v_rcp_f64_e32 v[26:27], v[10:11]
	v_fma_f64 v[34:35], -v[10:11], v[26:27], 1.0
	v_fmac_f64_e32 v[26:27], v[26:27], v[34:35]
	v_fma_f64 v[34:35], -v[10:11], v[26:27], 1.0
	v_fmac_f64_e32 v[26:27], v[26:27], v[34:35]
	v_div_scale_f64 v[34:35], vcc, v[8:9], v[28:29], v[8:9]
	v_mul_f64 v[48:49], v[34:35], v[26:27]
	v_fma_f64 v[10:11], -v[10:11], v[48:49], v[34:35]
	s_nop 1
	v_div_fmas_f64 v[10:11], v[10:11], v[26:27], v[48:49]
	v_div_fixup_f64 v[8:9], v[10:11], v[28:29], v[8:9]
	v_mul_f64 v[10:11], v[8:9], s[6:7]
	v_rndne_f64_e32 v[10:11], v[10:11]
	v_fma_f64 v[26:27], s[2:3], v[10:11], v[8:9]
	v_fmac_f64_e32 v[26:27], s[4:5], v[10:11]
	v_fmac_f64_e32 v[16:17], s[8:9], v[26:27]
	v_fma_f64 v[16:17], v[26:27], v[16:17], s[14:15]
	v_fma_f64 v[16:17], v[26:27], v[16:17], s[16:17]
	;; [unrolled: 1-line block ×8, first 2 shown]
	v_fma_f64 v[16:17], v[26:27], v[16:17], 1.0
	v_fma_f64 v[16:17], v[26:27], v[16:17], 1.0
	v_cvt_i32_f64_e32 v10, v[10:11]
	v_ldexp_f64 v[10:11], v[16:17], v10
	v_cmp_nlt_f64_e32 vcc, s[30:31], v[8:9]
	v_cmp_ngt_f64_e64 s[0:1], s[34:35], v[8:9]
	v_cndmask_b32_e32 v11, v22, v11, vcc
	s_and_b64 vcc, s[0:1], vcc
	v_cndmask_b32_e32 v52, 0, v10, vcc
	v_cndmask_b32_e64 v53, 0, v11, s[0:1]
	v_mul_f64 v[6:7], v[6:7], v[52:53]
	v_fma_f64 v[0:1], v[0:1], v[38:39], -v[6:7]
	buffer_load_dword v22, off, s[56:59], 0 offset:24 ; 4-byte Folded Reload
	buffer_load_dword v23, off, s[56:59], 0 offset:28 ; 4-byte Folded Reload
	s_nop 0
	buffer_store_dword v0, off, s[56:59], 0 offset:384 ; 4-byte Folded Spill
	s_nop 0
	buffer_store_dword v1, off, s[56:59], 0 offset:388 ; 4-byte Folded Spill
	buffer_load_dword v6, off, s[56:59], 0 offset:80 ; 4-byte Folded Reload
	buffer_load_dword v7, off, s[56:59], 0 offset:84 ; 4-byte Folded Reload
	v_mul_f64 v[26:27], v[42:43], v[98:99]
	s_waitcnt vmcnt(4)
	v_mul_f64 v[0:1], v[22:23], v[0:1]
	s_waitcnt vmcnt(0)
	v_fma_f64 v[8:9], v[6:7], v[52:53], 1.0
	buffer_load_dword v6, off, s[56:59], 0 offset:352 ; 4-byte Folded Reload
	buffer_load_dword v7, off, s[56:59], 0 offset:356 ; 4-byte Folded Reload
	s_waitcnt vmcnt(0)
	v_add_f64 v[6:7], v[6:7], v[54:55]
	buffer_store_dword v6, off, s[56:59], 0 offset:376 ; 4-byte Folded Spill
	s_nop 0
	buffer_store_dword v7, off, s[56:59], 0 offset:380 ; 4-byte Folded Spill
	buffer_store_dword v8, off, s[56:59], 0 offset:392 ; 4-byte Folded Spill
	s_nop 0
	buffer_store_dword v9, off, s[56:59], 0 offset:396 ; 4-byte Folded Spill
	v_mul_f64 v[6:7], v[6:7], v[8:9]
	v_mul_f64 v[8:9], v[76:77], v[76:77]
	v_fma_f64 v[8:9], v[76:77], v[8:9], v[30:31]
	buffer_store_dword v8, off, s[56:59], 0 offset:400 ; 4-byte Folded Spill
	s_nop 0
	buffer_store_dword v9, off, s[56:59], 0 offset:404 ; 4-byte Folded Spill
	v_mul_f64 v[76:77], v[8:9], v[6:7]
	v_div_scale_f64 v[6:7], s[0:1], v[76:77], v[76:77], v[0:1]
	v_rcp_f64_e32 v[8:9], v[6:7]
	v_fma_f64 v[10:11], -v[6:7], v[8:9], 1.0
	v_fmac_f64_e32 v[8:9], v[8:9], v[10:11]
	v_fma_f64 v[10:11], -v[6:7], v[8:9], 1.0
	v_fmac_f64_e32 v[8:9], v[8:9], v[10:11]
	v_div_scale_f64 v[10:11], vcc, v[0:1], v[76:77], v[0:1]
	v_mul_f64 v[16:17], v[10:11], v[8:9]
	v_fma_f64 v[6:7], -v[6:7], v[16:17], v[10:11]
	s_nop 1
	v_div_fmas_f64 v[6:7], v[6:7], v[8:9], v[16:17]
	v_div_fixup_f64 v[96:97], v[6:7], v[76:77], v[0:1]
	buffer_load_dword v0, off, s[56:59], 0 offset:112 ; 4-byte Folded Reload
	buffer_load_dword v1, off, s[56:59], 0 offset:116 ; 4-byte Folded Reload
	;; [unrolled: 1-line block ×4, first 2 shown]
	s_nop 0
	buffer_store_dword v88, off, s[56:59], 0 offset:352 ; 4-byte Folded Spill
	s_nop 0
	buffer_store_dword v89, off, s[56:59], 0 offset:356 ; 4-byte Folded Spill
	buffer_store_dword v96, off, s[56:59], 0 offset:112 ; 4-byte Folded Spill
	s_nop 0
	buffer_store_dword v97, off, s[56:59], 0 offset:116 ; 4-byte Folded Spill
	s_waitcnt vmcnt(6)
	v_add_f64 v[34:35], v[42:43], v[0:1]
	v_div_scale_f64 v[0:1], s[0:1], v[34:35], v[34:35], v[26:27]
	v_rcp_f64_e32 v[6:7], v[0:1]
	v_fma_f64 v[8:9], -v[0:1], v[6:7], 1.0
	v_fmac_f64_e32 v[6:7], v[6:7], v[8:9]
	v_fma_f64 v[8:9], -v[0:1], v[6:7], 1.0
	v_fmac_f64_e32 v[6:7], v[6:7], v[8:9]
	v_div_scale_f64 v[8:9], vcc, v[26:27], v[34:35], v[26:27]
	v_mul_f64 v[10:11], v[8:9], v[6:7]
	v_fma_f64 v[0:1], -v[0:1], v[10:11], v[8:9]
	s_nop 1
	v_div_fmas_f64 v[0:1], v[0:1], v[6:7], v[10:11]
	v_div_fixup_f64 v[24:25], v[0:1], v[34:35], v[26:27]
	buffer_store_dword v24, off, s[56:59], 0 offset:408 ; 4-byte Folded Spill
	s_nop 0
	buffer_store_dword v25, off, s[56:59], 0 offset:412 ; 4-byte Folded Spill
	v_div_scale_f64 v[0:1], s[0:1], v[58:59], v[58:59], v[70:71]
	v_rcp_f64_e32 v[6:7], v[0:1]
	v_fma_f64 v[8:9], -v[0:1], v[6:7], 1.0
	v_fmac_f64_e32 v[6:7], v[6:7], v[8:9]
	v_fma_f64 v[8:9], -v[0:1], v[6:7], 1.0
	v_fmac_f64_e32 v[6:7], v[6:7], v[8:9]
	v_div_scale_f64 v[8:9], vcc, v[70:71], v[58:59], v[70:71]
	v_mul_f64 v[10:11], v[8:9], v[6:7]
	v_fma_f64 v[0:1], -v[0:1], v[10:11], v[8:9]
	s_nop 1
	v_div_fmas_f64 v[0:1], v[0:1], v[6:7], v[10:11]
	v_div_fixup_f64 v[0:1], v[0:1], v[58:59], v[70:71]
	v_add_f64 v[92:93], v[0:1], 1.0
	v_div_scale_f64 v[0:1], s[0:1], v[92:93], v[92:93], v[102:103]
	v_rcp_f64_e32 v[6:7], v[0:1]
	v_fma_f64 v[8:9], -v[0:1], v[6:7], 1.0
	v_fmac_f64_e32 v[6:7], v[6:7], v[8:9]
	v_fma_f64 v[8:9], -v[0:1], v[6:7], 1.0
	v_fmac_f64_e32 v[6:7], v[6:7], v[8:9]
	v_div_scale_f64 v[8:9], vcc, v[102:103], v[92:93], v[102:103]
	v_mul_f64 v[10:11], v[8:9], v[6:7]
	v_fma_f64 v[0:1], -v[0:1], v[10:11], v[8:9]
	s_waitcnt vmcnt(6)
	v_mul_f64 v[8:9], v[114:115], v[40:41]
	v_div_fmas_f64 v[0:1], v[0:1], v[6:7], v[10:11]
	v_div_scale_f64 v[10:11], s[0:1], v[100:101], v[100:101], v[8:9]
	v_rcp_f64_e32 v[16:17], v[10:11]
	v_div_fixup_f64 v[6:7], v[0:1], v[92:93], v[102:103]
	v_add_f64 v[0:1], v[68:69], -v[42:43]
	v_fma_f64 v[48:49], -v[10:11], v[16:17], 1.0
	v_fmac_f64_e32 v[16:17], v[16:17], v[48:49]
	v_fma_f64 v[48:49], -v[10:11], v[16:17], 1.0
	v_fmac_f64_e32 v[16:17], v[16:17], v[48:49]
	v_div_scale_f64 v[48:49], vcc, v[8:9], v[100:101], v[8:9]
	v_mul_f64 v[50:51], v[48:49], v[16:17]
	v_fma_f64 v[10:11], -v[10:11], v[50:51], v[48:49]
	s_nop 1
	v_div_fmas_f64 v[10:11], v[10:11], v[16:17], v[50:51]
	v_div_fixup_f64 v[8:9], v[10:11], v[100:101], v[8:9]
	v_add_f64 v[10:11], v[8:9], 1.0
	v_div_scale_f64 v[8:9], s[0:1], v[10:11], v[10:11], 1.0
	v_rcp_f64_e32 v[16:17], v[8:9]
	v_fma_f64 v[48:49], -v[8:9], v[16:17], 1.0
	v_fmac_f64_e32 v[16:17], v[16:17], v[48:49]
	v_fma_f64 v[48:49], -v[8:9], v[16:17], 1.0
	v_fmac_f64_e32 v[16:17], v[16:17], v[48:49]
	v_div_scale_f64 v[48:49], vcc, 1.0, v[10:11], 1.0
	v_mul_f64 v[50:51], v[48:49], v[16:17]
	v_fma_f64 v[8:9], -v[8:9], v[50:51], v[48:49]
	s_nop 1
	v_div_fmas_f64 v[8:9], v[8:9], v[16:17], v[50:51]
	v_div_fixup_f64 v[48:49], v[8:9], v[10:11], 1.0
	v_fma_f64 v[8:9], v[126:127], v[32:33], -v[6:7]
	v_mul_f64 v[8:9], v[110:111], v[8:9]
	v_div_scale_f64 v[16:17], s[0:1], v[94:95], v[94:95], v[8:9]
	v_rcp_f64_e32 v[50:51], v[16:17]
	v_mul_f64 v[10:11], v[10:11], v[10:11]
	v_fma_f64 v[82:83], -v[16:17], v[50:51], 1.0
	v_fmac_f64_e32 v[50:51], v[50:51], v[82:83]
	v_fma_f64 v[82:83], -v[16:17], v[50:51], 1.0
	v_fmac_f64_e32 v[50:51], v[50:51], v[82:83]
	v_div_scale_f64 v[82:83], vcc, v[8:9], v[94:95], v[8:9]
	v_mul_f64 v[86:87], v[82:83], v[50:51]
	v_fma_f64 v[16:17], -v[16:17], v[86:87], v[82:83]
	s_nop 1
	v_div_fmas_f64 v[16:17], v[16:17], v[50:51], v[86:87]
	v_div_fixup_f64 v[8:9], v[16:17], v[94:95], v[8:9]
	v_fma_f64 v[16:17], -2.0, v[96:97], v[88:89]
	v_add_f64 v[16:17], v[24:25], v[16:17]
	v_mul_f64 v[16:17], v[14:15], v[16:17]
	v_mul_f64 v[50:51], v[46:47], v[94:95]
	v_div_scale_f64 v[82:83], s[0:1], v[50:51], v[50:51], v[16:17]
	v_rcp_f64_e32 v[86:87], v[82:83]
	v_mul_f64 v[24:25], v[56:57], v[100:101]
	v_mul_f64 v[10:11], v[24:25], v[10:11]
	v_fma_f64 v[88:89], -v[82:83], v[86:87], 1.0
	v_fmac_f64_e32 v[86:87], v[86:87], v[88:89]
	v_fma_f64 v[88:89], -v[82:83], v[86:87], 1.0
	v_fmac_f64_e32 v[86:87], v[86:87], v[88:89]
	v_div_scale_f64 v[88:89], vcc, v[16:17], v[50:51], v[16:17]
	v_mul_f64 v[96:97], v[88:89], v[86:87]
	v_fma_f64 v[82:83], -v[82:83], v[96:97], v[88:89]
	s_nop 1
	v_div_fmas_f64 v[82:83], v[82:83], v[86:87], v[96:97]
	v_div_fixup_f64 v[16:17], v[82:83], v[50:51], v[16:17]
	v_add_f64 v[8:9], v[8:9], -v[16:17]
	v_add_f64 v[16:17], v[114:115], v[114:115]
	v_mul_f64 v[16:17], v[16:17], v[40:41]
	v_div_scale_f64 v[24:25], s[0:1], v[10:11], v[10:11], v[16:17]
	v_rcp_f64_e32 v[40:41], v[24:25]
	v_fmac_f64_e32 v[8:9], v[0:1], v[108:109]
	v_mul_f64 v[82:83], v[48:49], v[8:9]
	v_fma_f64 v[56:57], -v[24:25], v[40:41], 1.0
	v_fmac_f64_e32 v[40:41], v[40:41], v[56:57]
	v_fma_f64 v[56:57], -v[24:25], v[40:41], 1.0
	v_fmac_f64_e32 v[40:41], v[40:41], v[56:57]
	v_div_scale_f64 v[56:57], vcc, v[16:17], v[10:11], v[16:17]
	v_mul_f64 v[86:87], v[56:57], v[40:41]
	v_fma_f64 v[24:25], -v[24:25], v[86:87], v[56:57]
	s_nop 1
	v_div_fmas_f64 v[24:25], v[24:25], v[40:41], v[86:87]
	v_div_fixup_f64 v[24:25], v[24:25], v[10:11], v[16:17]
	v_mul_f64 v[10:11], v[122:123], v[22:23]
	v_mul_f64 v[10:11], v[10:11], v[30:31]
	;; [unrolled: 1-line block ×3, first 2 shown]
	v_div_scale_f64 v[16:17], s[0:1], v[76:77], v[76:77], v[10:11]
	v_rcp_f64_e32 v[40:41], v[16:17]
	v_mul_f64 v[8:9], v[24:25], v[8:9]
                                        ; implicit-def: $vgpr24_vgpr25
	v_fma_f64 v[56:57], -v[16:17], v[40:41], 1.0
	v_fmac_f64_e32 v[40:41], v[40:41], v[56:57]
	v_fma_f64 v[56:57], -v[16:17], v[40:41], 1.0
	v_fmac_f64_e32 v[40:41], v[40:41], v[56:57]
	v_div_scale_f64 v[56:57], vcc, v[10:11], v[76:77], v[10:11]
	v_mul_f64 v[86:87], v[56:57], v[40:41]
	v_fma_f64 v[16:17], -v[16:17], v[86:87], v[56:57]
	v_mul_f64 v[56:57], v[42:43], v[58:59]
	s_nop 0
	v_div_fmas_f64 v[16:17], v[16:17], v[40:41], v[86:87]
	v_div_fixup_f64 v[40:41], v[16:17], v[76:77], v[10:11]
	v_add_f64 v[10:11], v[102:103], v[102:103]
	v_mul_f64 v[16:17], v[92:93], v[92:93]
	v_mul_f64 v[10:11], v[70:71], v[10:11]
	;; [unrolled: 1-line block ×3, first 2 shown]
	v_div_scale_f64 v[56:57], s[0:1], v[16:17], v[16:17], v[10:11]
	v_rcp_f64_e32 v[58:59], v[56:57]
	v_fma_f64 v[70:71], -v[56:57], v[58:59], 1.0
	v_fmac_f64_e32 v[58:59], v[58:59], v[70:71]
	v_fma_f64 v[70:71], -v[56:57], v[58:59], 1.0
	v_fmac_f64_e32 v[58:59], v[58:59], v[70:71]
	v_div_scale_f64 v[70:71], vcc, v[10:11], v[16:17], v[10:11]
	v_mul_f64 v[86:87], v[70:71], v[58:59]
	v_fma_f64 v[56:57], -v[56:57], v[86:87], v[70:71]
	s_nop 1
	v_div_fmas_f64 v[56:57], v[56:57], v[58:59], v[86:87]
	v_div_fixup_f64 v[10:11], v[56:57], v[16:17], v[10:11]
	v_div_scale_f64 v[16:17], s[0:1], v[34:35], v[34:35], v[98:99]
	v_rcp_f64_e32 v[56:57], v[16:17]
	v_add_f64 v[10:11], -v[32:33], -v[10:11]
	v_mul_f64 v[10:11], v[110:111], v[10:11]
	v_fma_f64 v[58:59], -v[16:17], v[56:57], 1.0
	v_fmac_f64_e32 v[56:57], v[56:57], v[58:59]
	v_fma_f64 v[58:59], -v[16:17], v[56:57], 1.0
	v_fmac_f64_e32 v[56:57], v[56:57], v[58:59]
	v_div_scale_f64 v[58:59], vcc, v[98:99], v[34:35], v[98:99]
	v_mul_f64 v[70:71], v[58:59], v[56:57]
	v_fma_f64 v[16:17], -v[16:17], v[70:71], v[58:59]
	s_nop 1
	v_div_fmas_f64 v[16:17], v[16:17], v[56:57], v[70:71]
	v_div_fixup_f64 v[16:17], v[16:17], v[34:35], v[98:99]
	v_mul_f64 v[34:35], v[34:35], v[34:35]
	v_div_scale_f64 v[56:57], s[0:1], v[34:35], v[34:35], v[26:27]
	v_rcp_f64_e32 v[58:59], v[56:57]
	v_fma_f64 v[70:71], -v[56:57], v[58:59], 1.0
	v_fmac_f64_e32 v[58:59], v[58:59], v[70:71]
	v_fma_f64 v[70:71], -v[56:57], v[58:59], 1.0
	v_fmac_f64_e32 v[58:59], v[58:59], v[70:71]
	v_div_scale_f64 v[70:71], vcc, v[26:27], v[34:35], v[26:27]
	v_mul_f64 v[86:87], v[70:71], v[58:59]
	v_fma_f64 v[56:57], -v[56:57], v[86:87], v[70:71]
	s_nop 1
	v_div_fmas_f64 v[56:57], v[56:57], v[58:59], v[86:87]
	v_div_fixup_f64 v[26:27], v[56:57], v[34:35], v[26:27]
	v_add_f64 v[16:17], v[16:17], -v[26:27]
	v_mul_f64 v[26:27], v[42:43], v[20:21]
	v_div_scale_f64 v[34:35], s[0:1], v[26:27], v[26:27], v[124:125]
	v_rcp_f64_e32 v[56:57], v[34:35]
	v_fma_f64 v[58:59], -v[34:35], v[56:57], 1.0
	v_fmac_f64_e32 v[56:57], v[56:57], v[58:59]
	v_fma_f64 v[58:59], -v[34:35], v[56:57], 1.0
	v_fmac_f64_e32 v[56:57], v[56:57], v[58:59]
	v_div_scale_f64 v[58:59], vcc, v[124:125], v[26:27], v[124:125]
	v_mul_f64 v[70:71], v[58:59], v[56:57]
	v_fma_f64 v[34:35], -v[34:35], v[70:71], v[58:59]
	s_nop 1
	v_div_fmas_f64 v[34:35], v[34:35], v[56:57], v[70:71]
	v_div_fixup_f64 v[26:27], v[34:35], v[26:27], v[124:125]
	v_div_scale_f64 v[34:35], s[0:1], v[94:95], v[94:95], v[10:11]
	v_rcp_f64_e32 v[56:57], v[34:35]
	v_mul_f64 v[26:27], v[104:105], v[26:27]
	v_fma_f64 v[26:27], v[40:41], 2.0, -v[26:27]
	v_add_f64 v[16:17], v[16:17], v[26:27]
	v_fma_f64 v[58:59], -v[34:35], v[56:57], 1.0
	v_fmac_f64_e32 v[56:57], v[56:57], v[58:59]
	v_fma_f64 v[58:59], -v[34:35], v[56:57], 1.0
	v_fmac_f64_e32 v[56:57], v[56:57], v[58:59]
	v_div_scale_f64 v[58:59], vcc, v[10:11], v[94:95], v[10:11]
	v_mul_f64 v[70:71], v[58:59], v[56:57]
	v_fma_f64 v[34:35], -v[34:35], v[70:71], v[58:59]
	v_mul_f64 v[16:17], v[14:15], v[16:17]
	s_nop 0
	v_div_fmas_f64 v[34:35], v[34:35], v[56:57], v[70:71]
	v_div_scale_f64 v[26:27], s[0:1], v[50:51], v[50:51], v[16:17]
	v_div_fixup_f64 v[10:11], v[34:35], v[94:95], v[10:11]
	v_rcp_f64_e32 v[34:35], v[26:27]
	v_add_f64 v[10:11], v[10:11], -v[108:109]
	s_mov_b32 s0, 0xe2308c3a
	s_mov_b32 s1, 0x3e45798e
	v_fma_f64 v[40:41], -v[26:27], v[34:35], 1.0
	v_fmac_f64_e32 v[34:35], v[34:35], v[40:41]
	v_fma_f64 v[40:41], -v[26:27], v[34:35], 1.0
	v_fmac_f64_e32 v[34:35], v[34:35], v[40:41]
	v_div_scale_f64 v[40:41], vcc, v[16:17], v[50:51], v[16:17]
	v_mul_f64 v[56:57], v[40:41], v[34:35]
	v_fma_f64 v[26:27], -v[26:27], v[56:57], v[40:41]
	s_nop 1
	v_div_fmas_f64 v[26:27], v[26:27], v[34:35], v[56:57]
	v_div_fixup_f64 v[16:17], v[26:27], v[50:51], v[16:17]
	v_add_f64 v[10:11], v[10:11], -v[16:17]
	v_fmac_f64_e32 v[8:9], v[48:49], v[10:11]
	v_cmp_ngt_f64_e64 s[0:1], |v[8:9]|, s[0:1]
	s_and_saveexec_b64 s[2:3], s[0:1]
	s_xor_b64 s[0:1], exec, s[2:3]
; %bb.58:
	v_mul_f64 v[24:25], v[82:83], s[12:13]
                                        ; implicit-def: $vgpr8_vgpr9
                                        ; implicit-def: $vgpr82_vgpr83
; %bb.59:
	s_andn2_saveexec_b64 s[2:3], s[0:1]
	s_cbranch_execz .LBB0_61
; %bb.60:
	s_mov_b32 s0, 0x652b82fe
	v_mul_f64 v[10:11], v[8:9], s[12:13]
	s_mov_b32 s1, 0x3ff71547
	v_mul_f64 v[16:17], v[10:11], s[0:1]
	s_mov_b32 s0, 0xfefa39ef
	v_rndne_f64_e32 v[16:17], v[16:17]
	s_mov_b32 s1, 0xbfe62e42
	v_fma_f64 v[24:25], s[0:1], v[16:17], v[10:11]
	s_mov_b32 s0, 0x3b39803f
	s_mov_b32 s1, 0xbc7abc9e
	v_fmac_f64_e32 v[24:25], s[0:1], v[16:17]
	s_mov_b32 s0, 0x6a5dcb37
	v_mov_b32_e32 v26, 0xfca7ab0c
	v_mov_b32_e32 v27, 0x3e928af3
	s_mov_b32 s1, 0x3e5ade15
	v_fmac_f64_e32 v[26:27], s[0:1], v[24:25]
	v_mov_b32_e32 v34, 0x623fde64
	v_mov_b32_e32 v35, 0x3ec71dee
	v_fmac_f64_e32 v[34:35], v[24:25], v[26:27]
	v_mov_b32_e32 v26, 0x7c89e6b0
	v_mov_b32_e32 v27, 0x3efa0199
	;; [unrolled: 3-line block ×8, first 2 shown]
	v_fmac_f64_e32 v[26:27], v[24:25], v[34:35]
	s_mov_b32 s0, 0
	v_fma_f64 v[26:27], v[24:25], v[26:27], 1.0
	s_mov_b32 s1, 0x40900000
	v_fma_f64 v[24:25], v[24:25], v[26:27], 1.0
	v_cvt_i32_f64_e32 v16, v[16:17]
	v_cmp_nlt_f64_e32 vcc, s[0:1], v[10:11]
	s_mov_b32 s0, 0
	v_ldexp_f64 v[16:17], v[24:25], v16
	s_mov_b32 s1, 0xc090cc00
	v_add_f64 v[16:17], v[16:17], -1.0
	v_mov_b32_e32 v22, 0x7ff00000
	v_cmp_ngt_f64_e64 s[0:1], s[0:1], v[10:11]
	v_cndmask_b32_e32 v17, v22, v17, vcc
	v_mov_b32_e32 v22, 0xbff00000
	s_and_b64 vcc, s[0:1], vcc
	v_cndmask_b32_e64 v11, v22, v17, s[0:1]
	v_cndmask_b32_e32 v10, 0, v16, vcc
	v_mul_f64 v[10:11], v[82:83], v[10:11]
	v_div_scale_f64 v[16:17], s[0:1], v[8:9], v[8:9], v[10:11]
	v_rcp_f64_e32 v[24:25], v[16:17]
	v_fma_f64 v[26:27], -v[16:17], v[24:25], 1.0
	v_fmac_f64_e32 v[24:25], v[24:25], v[26:27]
	v_fma_f64 v[26:27], -v[16:17], v[24:25], 1.0
	v_fmac_f64_e32 v[24:25], v[24:25], v[26:27]
	v_div_scale_f64 v[26:27], vcc, v[10:11], v[8:9], v[10:11]
	v_mul_f64 v[34:35], v[26:27], v[24:25]
	v_fma_f64 v[16:17], -v[16:17], v[34:35], v[26:27]
	s_nop 1
	v_div_fmas_f64 v[16:17], v[16:17], v[24:25], v[34:35]
	v_div_fixup_f64 v[24:25], v[16:17], v[8:9], v[10:11]
.LBB0_61:
	s_or_b64 exec, exec, s[2:3]
	buffer_load_dword v8, off, s[56:59], 0 offset:336 ; 4-byte Folded Reload
	buffer_load_dword v9, off, s[56:59], 0 offset:340 ; 4-byte Folded Reload
	;; [unrolled: 1-line block ×6, first 2 shown]
	v_mul_f64 v[34:35], v[120:121], v[120:121]
                                        ; implicit-def: $vgpr82_vgpr83
	s_waitcnt vmcnt(4)
	v_mul_f64 v[48:49], v[8:9], v[8:9]
	v_div_scale_f64 v[8:9], s[0:1], v[34:35], v[34:35], v[48:49]
	v_rcp_f64_e32 v[10:11], v[8:9]
	s_waitcnt vmcnt(0)
	v_add_f64 v[50:51], v[22:23], -v[16:17]
	v_fma_f64 v[16:17], -v[8:9], v[10:11], 1.0
	v_fmac_f64_e32 v[10:11], v[10:11], v[16:17]
	v_fma_f64 v[16:17], -v[8:9], v[10:11], 1.0
	v_fmac_f64_e32 v[10:11], v[10:11], v[16:17]
	v_div_scale_f64 v[16:17], vcc, v[48:49], v[34:35], v[48:49]
	v_mul_f64 v[26:27], v[16:17], v[10:11]
	v_fma_f64 v[8:9], -v[8:9], v[26:27], v[16:17]
	s_nop 1
	v_div_fmas_f64 v[8:9], v[8:9], v[10:11], v[26:27]
	v_div_fixup_f64 v[8:9], v[8:9], v[34:35], v[48:49]
	v_add_f64 v[70:71], v[8:9], 1.0
	v_div_scale_f64 v[8:9], s[0:1], v[70:71], v[70:71], v[50:51]
	v_rcp_f64_e32 v[10:11], v[8:9]
	s_mov_b32 s0, 0xe2308c3a
	s_mov_b32 s1, 0x3e45798e
	v_fma_f64 v[16:17], -v[8:9], v[10:11], 1.0
	v_fmac_f64_e32 v[10:11], v[10:11], v[16:17]
	v_fma_f64 v[16:17], -v[8:9], v[10:11], 1.0
	v_fmac_f64_e32 v[10:11], v[10:11], v[16:17]
	v_div_scale_f64 v[16:17], vcc, v[50:51], v[70:71], v[50:51]
	v_mul_f64 v[26:27], v[16:17], v[10:11]
	v_fma_f64 v[8:9], -v[8:9], v[26:27], v[16:17]
	v_mul_f64 v[16:17], v[118:119], v[68:69]
	s_nop 0
	v_div_fmas_f64 v[8:9], v[8:9], v[10:11], v[26:27]
	buffer_load_dword v10, off, s[56:59], 0 offset:280 ; 4-byte Folded Reload
	buffer_load_dword v11, off, s[56:59], 0 offset:284 ; 4-byte Folded Reload
	v_div_fixup_f64 v[8:9], v[8:9], v[70:71], v[50:51]
	v_add_f64 v[26:27], v[22:23], -v[8:9]
	v_add_f64 v[8:9], v[42:43], v[24:25]
	s_waitcnt vmcnt(0)
	global_store_dwordx2 v[10:11], v[8:9], off
	buffer_load_dword v8, off, s[56:59], 0 offset:320 ; 4-byte Folded Reload
	s_nop 0
	buffer_load_dword v9, off, s[56:59], 0 offset:324 ; 4-byte Folded Reload
	buffer_load_dword v22, off, s[56:59], 0 offset:312 ; 4-byte Folded Reload
	;; [unrolled: 1-line block ×3, first 2 shown]
	v_add_f64 v[10:11], -v[118:119], 1.0
	s_waitcnt vmcnt(2)
	v_mul_f64 v[8:9], v[8:9], v[26:27]
	v_mul_f64 v[16:17], v[16:17], v[8:9]
	s_waitcnt vmcnt(0)
	v_fma_f64 v[24:25], -v[68:69], v[8:9], -v[22:23]
	v_fma_f64 v[40:41], v[10:11], v[22:23], -v[16:17]
	v_cmp_ngt_f64_e64 s[0:1], |v[24:25]|, s[0:1]
	s_and_saveexec_b64 s[2:3], s[0:1]
	s_xor_b64 s[0:1], exec, s[2:3]
; %bb.62:
	v_mul_f64 v[82:83], v[40:41], s[12:13]
                                        ; implicit-def: $vgpr24_vgpr25
                                        ; implicit-def: $vgpr40_vgpr41
; %bb.63:
	s_or_saveexec_b64 s[2:3], s[0:1]
	v_mul_f64 v[8:9], v[126:127], v[32:33]
	s_xor_b64 exec, exec, s[2:3]
	s_cbranch_execz .LBB0_65
; %bb.64:
	s_mov_b32 s0, 0x652b82fe
	v_mul_f64 v[10:11], v[24:25], s[12:13]
	s_mov_b32 s1, 0x3ff71547
	v_mul_f64 v[16:17], v[10:11], s[0:1]
	s_mov_b32 s0, 0xfefa39ef
	v_rndne_f64_e32 v[16:17], v[16:17]
	s_mov_b32 s1, 0xbfe62e42
	v_fma_f64 v[56:57], s[0:1], v[16:17], v[10:11]
	s_mov_b32 s0, 0x3b39803f
	s_mov_b32 s1, 0xbc7abc9e
	v_fmac_f64_e32 v[56:57], s[0:1], v[16:17]
	s_mov_b32 s0, 0x6a5dcb37
	v_mov_b32_e32 v58, 0xfca7ab0c
	v_mov_b32_e32 v59, 0x3e928af3
	s_mov_b32 s1, 0x3e5ade15
	v_fmac_f64_e32 v[58:59], s[0:1], v[56:57]
	v_mov_b32_e32 v82, 0x623fde64
	v_mov_b32_e32 v83, 0x3ec71dee
	v_fmac_f64_e32 v[82:83], v[56:57], v[58:59]
	v_mov_b32_e32 v58, 0x7c89e6b0
	v_mov_b32_e32 v59, 0x3efa0199
	;; [unrolled: 3-line block ×8, first 2 shown]
	v_fmac_f64_e32 v[58:59], v[56:57], v[82:83]
	s_mov_b32 s0, 0
	v_fma_f64 v[58:59], v[56:57], v[58:59], 1.0
	s_mov_b32 s1, 0x40900000
	v_fma_f64 v[56:57], v[56:57], v[58:59], 1.0
	v_cvt_i32_f64_e32 v16, v[16:17]
	v_cmp_nlt_f64_e32 vcc, s[0:1], v[10:11]
	s_mov_b32 s0, 0
	v_ldexp_f64 v[16:17], v[56:57], v16
	s_mov_b32 s1, 0xc090cc00
	v_add_f64 v[16:17], v[16:17], -1.0
	v_mov_b32_e32 v22, 0x7ff00000
	v_cmp_ngt_f64_e64 s[0:1], s[0:1], v[10:11]
	v_cndmask_b32_e32 v17, v22, v17, vcc
	v_mov_b32_e32 v22, 0xbff00000
	s_and_b64 vcc, s[0:1], vcc
	v_cndmask_b32_e64 v11, v22, v17, s[0:1]
	v_cndmask_b32_e32 v10, 0, v16, vcc
	v_mul_f64 v[10:11], v[40:41], v[10:11]
	v_div_scale_f64 v[16:17], s[0:1], v[24:25], v[24:25], v[10:11]
	v_rcp_f64_e32 v[40:41], v[16:17]
	v_fma_f64 v[56:57], -v[16:17], v[40:41], 1.0
	v_fmac_f64_e32 v[40:41], v[40:41], v[56:57]
	v_fma_f64 v[56:57], -v[16:17], v[40:41], 1.0
	v_fmac_f64_e32 v[40:41], v[40:41], v[56:57]
	v_div_scale_f64 v[56:57], vcc, v[10:11], v[24:25], v[10:11]
	v_mul_f64 v[58:59], v[56:57], v[40:41]
	v_fma_f64 v[16:17], -v[16:17], v[58:59], v[56:57]
	s_nop 1
	v_div_fmas_f64 v[16:17], v[16:17], v[40:41], v[58:59]
	v_div_fixup_f64 v[82:83], v[16:17], v[24:25], v[10:11]
.LBB0_65:
	s_or_b64 exec, exec, s[2:3]
	buffer_load_dword v98, off, s[56:59], 0 offset:304 ; 4-byte Folded Reload
	buffer_load_dword v99, off, s[56:59], 0 offset:308 ; 4-byte Folded Reload
	buffer_load_dword v22, off, s[56:59], 0 offset:240 ; 4-byte Folded Reload
	buffer_load_dword v23, off, s[56:59], 0 offset:244 ; 4-byte Folded Reload
	v_add_f64 v[82:83], v[118:119], v[82:83]
	v_div_scale_f64 v[10:11], s[0:1], v[26:27], v[26:27], v[44:45]
	v_rcp_f64_e32 v[16:17], v[10:11]
	v_mul_f64 v[58:59], v[118:119], v[112:113]
	v_mul_f64 v[34:35], v[120:121], v[34:35]
	s_mov_b32 s2, 0x4222de17
	v_fma_f64 v[24:25], -v[10:11], v[16:17], 1.0
	v_fmac_f64_e32 v[16:17], v[16:17], v[24:25]
	v_fma_f64 v[24:25], -v[10:11], v[16:17], 1.0
	v_fmac_f64_e32 v[16:17], v[16:17], v[24:25]
	v_div_scale_f64 v[24:25], vcc, v[44:45], v[26:27], v[44:45]
	v_mul_f64 v[40:41], v[24:25], v[16:17]
	v_fma_f64 v[10:11], -v[10:11], v[40:41], v[24:25]
	s_mov_b32 s3, 0x3fbdee67
	s_nop 0
	v_div_fmas_f64 v[10:11], v[10:11], v[16:17], v[40:41]
	v_div_fixup_f64 v[102:103], v[10:11], v[26:27], v[44:45]
	v_mul_f64 v[10:11], v[58:59], v[102:103]
	v_fmac_f64_e32 v[116:117], v[112:113], v[102:103]
	v_div_scale_f64 v[16:17], s[0:1], v[116:117], v[116:117], v[10:11]
	v_rcp_f64_e32 v[24:25], v[16:17]
	s_mov_b32 s5, 0x3c7abc9e
	s_movk_i32 s8, 0x204
	s_mov_b32 s6, 0
	v_fma_f64 v[40:41], -v[16:17], v[24:25], 1.0
	v_fmac_f64_e32 v[24:25], v[24:25], v[40:41]
	v_fma_f64 v[40:41], -v[16:17], v[24:25], 1.0
	v_fmac_f64_e32 v[24:25], v[24:25], v[40:41]
	v_div_scale_f64 v[40:41], vcc, v[10:11], v[116:117], v[10:11]
	v_mul_f64 v[56:57], v[40:41], v[24:25]
	v_fma_f64 v[16:17], -v[16:17], v[56:57], v[40:41]
	s_mov_b32 s7, 0x7ff00000
	s_nop 0
	v_div_fmas_f64 v[16:17], v[16:17], v[24:25], v[56:57]
	v_div_fixup_f64 v[24:25], v[16:17], v[116:117], v[10:11]
	v_add_f64 v[16:17], v[120:121], v[74:75]
	v_mul_f64 v[56:57], v[16:17], v[16:17]
	v_mul_f64 v[16:17], v[16:17], v[56:57]
	;; [unrolled: 1-line block ×3, first 2 shown]
	s_waitcnt vmcnt(2)
	v_mul_f64 v[10:11], v[98:99], v[74:75]
	s_waitcnt vmcnt(0)
	global_store_dwordx2 v[22:23], v[82:83], off
	buffer_load_dword v100, off, s[56:59], 0 offset:296 ; 4-byte Folded Reload
	buffer_load_dword v101, off, s[56:59], 0 offset:300 ; 4-byte Folded Reload
	v_div_scale_f64 v[40:41], s[0:1], v[56:57], v[56:57], v[10:11]
	v_rcp_f64_e32 v[86:87], v[40:41]
	v_add_f64 v[82:83], v[120:121], -v[68:69]
	v_mov_b32_e32 v22, 0x7ff00000
	v_fma_f64 v[88:89], -v[40:41], v[86:87], 1.0
	v_fmac_f64_e32 v[86:87], v[86:87], v[88:89]
	v_fma_f64 v[88:89], -v[40:41], v[86:87], 1.0
	v_fmac_f64_e32 v[86:87], v[86:87], v[88:89]
	v_div_scale_f64 v[88:89], vcc, v[10:11], v[56:57], v[10:11]
	v_mul_f64 v[92:93], v[88:89], v[86:87]
	v_fma_f64 v[40:41], -v[40:41], v[92:93], v[88:89]
	s_waitcnt vmcnt(0)
	v_mul_f64 v[104:105], v[82:83], v[100:101]
	v_div_fmas_f64 v[40:41], v[40:41], v[86:87], v[92:93]
	v_div_fixup_f64 v[10:11], v[40:41], v[56:57], v[10:11]
	v_add_f64 v[10:11], v[10:11], 1.0
	v_div_scale_f64 v[40:41], s[0:1], v[10:11], v[10:11], 1.0
	v_rcp_f64_e32 v[86:87], v[40:41]
	v_fma_f64 v[8:9], -v[104:105], v[24:25], -v[8:9]
	v_mul_f64 v[126:127], v[100:101], v[24:25]
	v_fma_f64 v[88:89], -v[40:41], v[86:87], 1.0
	v_fmac_f64_e32 v[86:87], v[86:87], v[88:89]
	v_fma_f64 v[88:89], -v[40:41], v[86:87], 1.0
	v_fmac_f64_e32 v[86:87], v[86:87], v[88:89]
	v_div_scale_f64 v[88:89], vcc, 1.0, v[10:11], 1.0
	v_mul_f64 v[92:93], v[88:89], v[86:87]
	v_fma_f64 v[40:41], -v[40:41], v[92:93], v[88:89]
	s_nop 1
	v_div_fmas_f64 v[40:41], v[40:41], v[86:87], v[92:93]
	v_add_f64 v[92:93], v[6:7], v[8:9]
	v_mul_f64 v[8:9], v[48:49], -2.0
	v_mul_f64 v[48:49], v[70:71], v[70:71]
	v_mul_f64 v[8:9], v[8:9], v[50:51]
	;; [unrolled: 1-line block ×3, first 2 shown]
	v_div_scale_f64 v[48:49], s[0:1], v[34:35], v[34:35], v[8:9]
	v_rcp_f64_e32 v[50:51], v[48:49]
	v_div_fixup_f64 v[40:41], v[40:41], v[10:11], 1.0
	v_mul_f64 v[10:11], v[10:11], v[10:11]
	v_mul_f64 v[10:11], v[16:17], v[10:11]
	v_fma_f64 v[70:71], -v[48:49], v[50:51], 1.0
	v_fmac_f64_e32 v[50:51], v[50:51], v[70:71]
	v_fma_f64 v[70:71], -v[48:49], v[50:51], 1.0
	v_fmac_f64_e32 v[50:51], v[50:51], v[70:71]
	v_div_scale_f64 v[70:71], vcc, v[8:9], v[34:35], v[8:9]
	v_mul_f64 v[82:83], v[70:71], v[50:51]
	v_fma_f64 v[48:49], -v[48:49], v[82:83], v[70:71]
	v_mul_f64 v[6:7], v[40:41], v[92:93]
	s_nop 0
	v_div_fmas_f64 v[48:49], v[48:49], v[50:51], v[82:83]
	v_div_fixup_f64 v[96:97], v[48:49], v[34:35], v[8:9]
	v_add_f64 v[8:9], v[98:99], v[98:99]
	v_mul_f64 v[8:9], v[8:9], v[74:75]
	v_div_scale_f64 v[16:17], s[0:1], v[10:11], v[10:11], v[8:9]
	v_rcp_f64_e32 v[34:35], v[16:17]
	v_fma_f64 v[48:49], -v[16:17], v[34:35], 1.0
	v_fmac_f64_e32 v[34:35], v[34:35], v[48:49]
	v_fma_f64 v[48:49], -v[16:17], v[34:35], 1.0
	v_fmac_f64_e32 v[34:35], v[34:35], v[48:49]
	v_div_scale_f64 v[48:49], vcc, v[8:9], v[10:11], v[8:9]
	v_mul_f64 v[50:51], v[48:49], v[34:35]
	v_fma_f64 v[16:17], -v[16:17], v[50:51], v[48:49]
	s_nop 1
	v_div_fmas_f64 v[16:17], v[16:17], v[34:35], v[50:51]
	v_div_fixup_f64 v[74:75], v[16:17], v[10:11], v[8:9]
	v_mul_f64 v[8:9], v[26:27], v[26:27]
	v_div_scale_f64 v[10:11], s[0:1], v[8:9], v[8:9], -v[44:45]
	v_rcp_f64_e32 v[16:17], v[10:11]
	v_fma_f64 v[26:27], -v[10:11], v[16:17], 1.0
	v_fmac_f64_e32 v[16:17], v[16:17], v[26:27]
	v_fma_f64 v[26:27], -v[10:11], v[16:17], 1.0
	v_fmac_f64_e32 v[16:17], v[16:17], v[26:27]
	v_div_scale_f64 v[26:27], vcc, -v[44:45], v[8:9], -v[44:45]
	v_mul_f64 v[34:35], v[26:27], v[16:17]
	v_fma_f64 v[10:11], -v[10:11], v[34:35], v[26:27]
	s_nop 1
	v_div_fmas_f64 v[10:11], v[10:11], v[16:17], v[34:35]
	v_div_fixup_f64 v[44:45], v[10:11], v[8:9], -v[44:45]
	v_div_scale_f64 v[8:9], s[0:1], v[116:117], v[116:117], v[58:59]
	v_rcp_f64_e32 v[10:11], v[8:9]
	s_mov_b32 s1, 0x3fe55555
	s_mov_b32 s0, 0x55555555
	v_fma_f64 v[16:17], -v[8:9], v[10:11], 1.0
	v_fmac_f64_e32 v[10:11], v[10:11], v[16:17]
	v_fma_f64 v[16:17], -v[8:9], v[10:11], 1.0
	v_fmac_f64_e32 v[10:11], v[10:11], v[16:17]
	v_div_scale_f64 v[16:17], vcc, v[58:59], v[116:117], v[58:59]
	v_mul_f64 v[26:27], v[16:17], v[10:11]
	v_fma_f64 v[8:9], -v[8:9], v[26:27], v[16:17]
	s_nop 1
	v_div_fmas_f64 v[8:9], v[8:9], v[10:11], v[26:27]
	v_div_fixup_f64 v[82:83], v[8:9], v[116:117], v[58:59]
	v_cmp_eq_f64_e32 vcc, 1.0, v[68:69]
	v_mov_b32_e32 v9, 0x40100000
	v_mov_b32_e32 v8, 0x3ff00000
	v_frexp_mant_f64_e64 v[10:11], |v[68:69]|
	v_cndmask_b32_e32 v27, v9, v8, vcc
	v_mov_b32_e32 v26, 0
	v_cmp_gt_f64_e32 vcc, s[0:1], v[10:11]
	v_cndmask_b32_e64 v17, v8, 2.0, vcc
	v_mov_b32_e32 v16, v26
	v_mul_f64 v[10:11], v[10:11], v[16:17]
	v_add_f64 v[34:35], v[10:11], 1.0
	v_add_f64 v[48:49], v[34:35], -1.0
	v_add_f64 v[16:17], v[10:11], -1.0
	v_add_f64 v[10:11], v[10:11], -v[48:49]
	v_rcp_f64_e32 v[48:49], v[34:35]
	v_frexp_exp_i32_f64_e32 v9, v[68:69]
	v_subbrev_co_u32_e32 v9, vcc, 0, v9, vcc
	v_fma_f64 v[50:51], -v[34:35], v[48:49], 1.0
	v_fmac_f64_e32 v[48:49], v[50:51], v[48:49]
	v_fma_f64 v[50:51], -v[34:35], v[48:49], 1.0
	v_fmac_f64_e32 v[48:49], v[50:51], v[48:49]
	v_mul_f64 v[50:51], v[16:17], v[48:49]
	v_mul_f64 v[56:57], v[34:35], v[50:51]
	v_fma_f64 v[34:35], v[50:51], v[34:35], -v[56:57]
	v_fmac_f64_e32 v[34:35], v[50:51], v[10:11]
	v_add_f64 v[10:11], v[56:57], v[34:35]
	v_add_f64 v[58:59], v[16:17], -v[10:11]
	v_add_f64 v[56:57], v[10:11], -v[56:57]
	v_add_f64 v[16:17], v[16:17], -v[58:59]
	v_add_f64 v[10:11], v[16:17], -v[10:11]
	v_add_f64 v[16:17], v[56:57], -v[34:35]
	v_add_f64 v[10:11], v[16:17], v[10:11]
	v_add_f64 v[10:11], v[58:59], v[10:11]
	v_mul_f64 v[10:11], v[48:49], v[10:11]
	v_add_f64 v[16:17], v[50:51], v[10:11]
	v_add_f64 v[34:35], v[16:17], -v[50:51]
	v_add_f64 v[10:11], v[10:11], -v[34:35]
	v_mul_f64 v[34:35], v[16:17], v[16:17]
	v_fma_f64 v[48:49], v[16:17], v[16:17], -v[34:35]
	v_add_f64 v[50:51], v[10:11], v[10:11]
	v_fmac_f64_e32 v[48:49], v[16:17], v[50:51]
	v_add_f64 v[50:51], v[34:35], v[48:49]
	v_add_f64 v[34:35], v[50:51], -v[34:35]
	v_add_f64 v[34:35], v[48:49], -v[34:35]
	v_mov_b32_e32 v48, 0x968915a9
	v_mov_b32_e32 v49, 0x3fba6564
	v_fmac_f64_e32 v[48:49], s[2:3], v[50:51]
	v_mov_b32_e32 v56, 0x3abe935a
	v_mov_b32_e32 v57, 0x3fbe25e4
	v_fmac_f64_e32 v[56:57], v[50:51], v[48:49]
	;; [unrolled: 3-line block ×8, first 2 shown]
	v_cvt_f64_i32_e32 v[48:49], v9
	s_mov_b32 s3, 0x3fe62e42
	s_mov_b32 s2, 0xfefa39ef
	v_mul_f64 v[58:59], v[48:49], s[2:3]
	v_mul_f64 v[88:89], v[16:17], v[50:51]
	v_fma_f64 v[70:71], v[48:49], s[2:3], -v[58:59]
	v_fma_f64 v[98:99], v[50:51], v[16:17], -v[88:89]
	v_fmac_f64_e32 v[70:71], s[4:5], v[48:49]
	v_fmac_f64_e32 v[98:99], v[50:51], v[10:11]
	v_add_f64 v[48:49], v[58:59], v[70:71]
	v_fmac_f64_e32 v[98:99], v[34:35], v[16:17]
	v_add_f64 v[58:59], v[48:49], -v[58:59]
	v_ldexp_f64 v[86:87], v[10:11], 1
	v_add_f64 v[10:11], v[88:89], v[98:99]
	v_add_f64 v[58:59], v[70:71], -v[58:59]
	v_ldexp_f64 v[70:71], v[16:17], 1
	v_add_f64 v[16:17], v[10:11], -v[88:89]
	v_mul_f64 v[88:89], v[50:51], v[56:57]
	v_fma_f64 v[50:51], v[50:51], v[56:57], -v[88:89]
	v_fmac_f64_e32 v[50:51], v[34:35], v[56:57]
	v_add_f64 v[34:35], v[88:89], v[50:51]
	v_add_f64 v[56:57], v[34:35], -v[88:89]
	v_add_f64 v[50:51], v[50:51], -v[56:57]
	v_add_f64 v[56:57], v[34:35], s[0:1]
	s_mov_b32 s1, 0xbfe55555
	v_add_f64 v[88:89], v[56:57], s[0:1]
	s_mov_b32 s0, 0xd5df274d
	s_mov_b32 s1, 0x3c8543b0
	v_add_f64 v[34:35], v[34:35], -v[88:89]
	v_add_f64 v[50:51], v[50:51], s[0:1]
	v_add_f64 v[34:35], v[50:51], v[34:35]
	;; [unrolled: 1-line block ×3, first 2 shown]
	v_add_f64 v[56:57], v[56:57], -v[50:51]
	v_add_f64 v[34:35], v[34:35], v[56:57]
	v_mul_f64 v[56:57], v[10:11], v[50:51]
	v_fma_f64 v[88:89], v[10:11], v[50:51], -v[56:57]
	v_add_f64 v[16:17], v[98:99], -v[16:17]
	v_fmac_f64_e32 v[88:89], v[10:11], v[34:35]
	v_fmac_f64_e32 v[88:89], v[16:17], v[50:51]
	v_add_f64 v[10:11], v[56:57], v[88:89]
	v_add_f64 v[16:17], v[10:11], -v[56:57]
	v_add_f64 v[34:35], v[70:71], v[10:11]
	v_add_f64 v[16:17], v[88:89], -v[16:17]
	v_add_f64 v[50:51], v[34:35], -v[70:71]
	;; [unrolled: 1-line block ×3, first 2 shown]
	v_add_f64 v[16:17], v[86:87], v[16:17]
	v_add_f64 v[10:11], v[16:17], v[10:11]
	;; [unrolled: 1-line block ×3, first 2 shown]
	v_add_f64 v[34:35], v[16:17], -v[34:35]
	v_add_f64 v[10:11], v[10:11], -v[34:35]
	v_add_f64 v[34:35], v[48:49], v[16:17]
	v_add_f64 v[50:51], v[34:35], -v[48:49]
	v_add_f64 v[56:57], v[34:35], -v[50:51]
	;; [unrolled: 1-line block ×4, first 2 shown]
	v_add_f64 v[16:17], v[16:17], v[48:49]
	v_add_f64 v[48:49], v[58:59], v[10:11]
	v_add_f64 v[50:51], v[48:49], -v[58:59]
	v_add_f64 v[16:17], v[48:49], v[16:17]
	v_add_f64 v[56:57], v[48:49], -v[50:51]
	;; [unrolled: 2-line block ×3, first 2 shown]
	v_add_f64 v[10:11], v[10:11], -v[50:51]
	v_add_f64 v[34:35], v[48:49], -v[34:35]
	v_add_f64 v[10:11], v[10:11], v[56:57]
	v_add_f64 v[16:17], v[16:17], -v[34:35]
	v_add_f64 v[10:11], v[10:11], v[16:17]
	v_add_f64 v[16:17], v[48:49], v[10:11]
	v_add_f64 v[34:35], v[16:17], -v[48:49]
	v_add_f64 v[10:11], v[10:11], -v[34:35]
	v_mul_f64 v[34:35], v[26:27], v[16:17]
	v_fma_f64 v[16:17], v[26:27], v[16:17], -v[34:35]
	v_fmac_f64_e32 v[16:17], v[26:27], v[10:11]
	v_add_f64 v[10:11], v[34:35], v[16:17]
	v_cmp_class_f64_e64 vcc, v[34:35], s8
	s_mov_b32 s0, 0x652b82fe
	v_add_f64 v[48:49], v[10:11], -v[34:35]
	v_cndmask_b32_e32 v11, v11, v35, vcc
	v_cndmask_b32_e32 v10, v10, v34, vcc
	s_mov_b32 s1, 0x3ff71547
	v_mul_f64 v[34:35], v[10:11], s[0:1]
	v_rndne_f64_e32 v[34:35], v[34:35]
	s_mov_b32 s3, 0xbfe62e42
	v_add_f64 v[16:17], v[16:17], -v[48:49]
	v_fma_f64 v[48:49], s[2:3], v[34:35], v[10:11]
	s_mov_b32 s5, 0xbc7abc9e
	s_mov_b32 s0, 0x6a5dcb37
	v_fmac_f64_e32 v[48:49], s[4:5], v[34:35]
	v_mov_b32_e32 v50, 0xfca7ab0c
	v_mov_b32_e32 v51, 0x3e928af3
	s_mov_b32 s1, 0x3e5ade15
	v_fmac_f64_e32 v[50:51], s[0:1], v[48:49]
	v_mov_b32_e32 v56, 0x623fde64
	v_mov_b32_e32 v57, 0x3ec71dee
	v_fmac_f64_e32 v[56:57], v[48:49], v[50:51]
	v_mov_b32_e32 v50, 0x7c89e6b0
	v_mov_b32_e32 v51, 0x3efa0199
	;; [unrolled: 3-line block ×8, first 2 shown]
	v_fmac_f64_e32 v[50:51], v[48:49], v[56:57]
	s_mov_b32 s0, 0
	v_cmp_neq_f64_e64 vcc, |v[10:11]|, s[6:7]
	v_fma_f64 v[50:51], v[48:49], v[50:51], 1.0
	s_mov_b32 s1, 0x40900000
	v_cndmask_b32_e32 v17, 0, v17, vcc
	v_cndmask_b32_e32 v16, 0, v16, vcc
	v_fma_f64 v[48:49], v[48:49], v[50:51], 1.0
	v_cvt_i32_f64_e32 v9, v[34:35]
	v_cmp_lt_f64_e32 vcc, s[0:1], v[10:11]
	s_mov_b32 s0, 0
	v_ldexp_f64 v[34:35], v[48:49], v9
	s_mov_b32 s1, 0xc090cc00
	v_cndmask_b32_e64 v9, v34, 0, vcc
	v_cndmask_b32_e32 v23, v35, v22, vcc
	v_cmp_ngt_f64_e64 s[0:1], s[0:1], v[10:11]
	v_and_b32_e32 v35, 0x7fffffff, v35
	v_cndmask_b32_e64 v11, 0, v23, s[0:1]
	v_cndmask_b32_e64 v10, 0, v9, s[0:1]
	v_cmp_eq_f64_e64 s[2:3], s[6:7], v[34:35]
	v_pk_mov_b32 v[48:49], v[10:11], v[10:11] op_sel:[0,1]
	s_or_b64 s[2:3], vcc, s[2:3]
	v_fmac_f64_e32 v[48:49], v[48:49], v[16:17]
	s_and_b64 vcc, s[0:1], s[2:3]
	v_cndmask_b32_e32 v9, v48, v10, vcc
	v_cndmask_b32_e32 v23, v49, v11, vcc
	v_trunc_f64_e32 v[10:11], v[26:27]
	v_cmp_eq_f64_e32 vcc, v[10:11], v[26:27]
	v_mul_f64 v[10:11], v[26:27], 0.5
	v_trunc_f64_e32 v[16:17], v[10:11]
	v_cmp_neq_f64_e64 s[0:1], v[16:17], v[10:11]
	s_and_b64 s[0:1], vcc, s[0:1]
	s_brev_b32 s4, -2
	v_cndmask_b32_e64 v8, v8, v69, s[0:1]
	v_bfi_b32 v8, s4, v23, v8
	v_mov_b32_e32 v10, 0x7ff80000
	v_cmp_gt_f64_e64 s[2:3], 0, v[68:69]
	v_cndmask_b32_e32 v11, v10, v8, vcc
	v_cndmask_b32_e32 v16, 0, v9, vcc
	v_cmp_eq_f64_e32 vcc, 0, v[68:69]
	v_cndmask_b32_e64 v9, v9, v16, s[2:3]
	v_cndmask_b32_e64 v8, v8, v11, s[2:3]
	v_cmp_class_f64_e64 s[2:3], v[68:69], s8
	v_cndmask_b32_e64 v11, v22, 0, vcc
	v_cndmask_b32_e64 v16, 0, v69, s[0:1]
	s_or_b64 s[2:3], vcc, s[2:3]
	v_bfi_b32 v11, s4, v11, v16
	v_cndmask_b32_e64 v11, v8, v11, s[2:3]
	v_cndmask_b32_e64 v8, v9, 0, s[2:3]
	v_cmp_o_f64_e32 vcc, v[68:69], v[68:69]
	v_cndmask_b32_e32 v8, 0, v8, vcc
	v_cndmask_b32_e32 v9, v10, v11, vcc
	v_mul_f64 v[8:9], v[118:119], v[8:9]
	v_mul_f64 v[8:9], v[102:103], v[8:9]
	v_div_scale_f64 v[10:11], s[0:1], v[124:125], v[124:125], v[8:9]
	v_rcp_f64_e32 v[16:17], v[10:11]
	s_mov_b32 s0, 0xe2308c3a
	s_mov_b32 s1, 0x3e45798e
	v_fma_f64 v[26:27], -v[10:11], v[16:17], 1.0
	v_fmac_f64_e32 v[16:17], v[16:17], v[26:27]
	v_fma_f64 v[26:27], -v[10:11], v[16:17], 1.0
	v_fmac_f64_e32 v[16:17], v[16:17], v[26:27]
	v_div_scale_f64 v[26:27], vcc, v[8:9], v[124:125], v[8:9]
	v_mul_f64 v[34:35], v[26:27], v[16:17]
	v_fma_f64 v[10:11], -v[10:11], v[34:35], v[26:27]
	s_nop 1
	v_div_fmas_f64 v[10:11], v[10:11], v[16:17], v[34:35]
	v_div_fixup_f64 v[8:9], v[10:11], v[124:125], v[8:9]
	v_add_f64 v[8:9], v[82:83], -v[8:9]
	v_mul_f64 v[8:9], v[104:105], v[8:9]
	v_mul_f64 v[8:9], v[44:45], v[8:9]
	v_fma_f64 v[10:11], v[96:97], v[8:9], v[126:127]
	v_add_f64 v[10:11], -v[32:33], -v[10:11]
	v_fma_f64 v[8:9], -v[96:97], v[8:9], v[10:11]
	v_mul_f64 v[8:9], v[40:41], v[8:9]
	v_fmac_f64_e32 v[8:9], v[74:75], v[92:93]
	v_cmp_ngt_f64_e64 s[0:1], |v[8:9]|, s[0:1]
                                        ; implicit-def: $vgpr34_vgpr35
	s_and_saveexec_b64 s[2:3], s[0:1]
	s_xor_b64 s[0:1], exec, s[2:3]
; %bb.66:
	v_mul_f64 v[34:35], v[6:7], s[12:13]
                                        ; implicit-def: $vgpr8_vgpr9
                                        ; implicit-def: $vgpr6_vgpr7
; %bb.67:
	s_or_saveexec_b64 s[2:3], s[0:1]
	v_mul_f64 v[0:1], v[0:1], v[108:109]
	v_mul_f64 v[24:25], v[104:105], v[24:25]
	s_xor_b64 exec, exec, s[2:3]
	s_cbranch_execz .LBB0_69
; %bb.68:
	s_mov_b32 s0, 0x652b82fe
	v_mul_f64 v[10:11], v[8:9], s[12:13]
	s_mov_b32 s1, 0x3ff71547
	v_mul_f64 v[16:17], v[10:11], s[0:1]
	s_mov_b32 s0, 0xfefa39ef
	v_rndne_f64_e32 v[16:17], v[16:17]
	s_mov_b32 s1, 0xbfe62e42
	v_fma_f64 v[26:27], s[0:1], v[16:17], v[10:11]
	s_mov_b32 s0, 0x3b39803f
	s_mov_b32 s1, 0xbc7abc9e
	v_fmac_f64_e32 v[26:27], s[0:1], v[16:17]
	s_mov_b32 s0, 0x6a5dcb37
	v_mov_b32_e32 v32, 0xfca7ab0c
	v_mov_b32_e32 v33, 0x3e928af3
	s_mov_b32 s1, 0x3e5ade15
	v_fmac_f64_e32 v[32:33], s[0:1], v[26:27]
	v_mov_b32_e32 v34, 0x623fde64
	v_mov_b32_e32 v35, 0x3ec71dee
	v_fmac_f64_e32 v[34:35], v[26:27], v[32:33]
	v_mov_b32_e32 v32, 0x7c89e6b0
	v_mov_b32_e32 v33, 0x3efa0199
	;; [unrolled: 3-line block ×8, first 2 shown]
	v_fmac_f64_e32 v[32:33], v[26:27], v[34:35]
	s_mov_b32 s0, 0
	v_fma_f64 v[32:33], v[26:27], v[32:33], 1.0
	s_mov_b32 s1, 0x40900000
	v_fma_f64 v[26:27], v[26:27], v[32:33], 1.0
	v_cvt_i32_f64_e32 v16, v[16:17]
	v_cmp_nlt_f64_e32 vcc, s[0:1], v[10:11]
	s_mov_b32 s0, 0
	v_ldexp_f64 v[16:17], v[26:27], v16
	s_mov_b32 s1, 0xc090cc00
	v_add_f64 v[16:17], v[16:17], -1.0
	v_mov_b32_e32 v22, 0x7ff00000
	v_cmp_ngt_f64_e64 s[0:1], s[0:1], v[10:11]
	v_cndmask_b32_e32 v17, v22, v17, vcc
	v_mov_b32_e32 v22, 0xbff00000
	s_and_b64 vcc, s[0:1], vcc
	v_cndmask_b32_e64 v11, v22, v17, s[0:1]
	v_cndmask_b32_e32 v10, 0, v16, vcc
	v_mul_f64 v[6:7], v[6:7], v[10:11]
	v_div_scale_f64 v[10:11], s[0:1], v[8:9], v[8:9], v[6:7]
	v_rcp_f64_e32 v[16:17], v[10:11]
	v_fma_f64 v[26:27], -v[10:11], v[16:17], 1.0
	v_fmac_f64_e32 v[16:17], v[16:17], v[26:27]
	v_fma_f64 v[26:27], -v[10:11], v[16:17], 1.0
	v_fmac_f64_e32 v[16:17], v[16:17], v[26:27]
	v_div_scale_f64 v[26:27], vcc, v[6:7], v[8:9], v[6:7]
	v_mul_f64 v[32:33], v[26:27], v[16:17]
	v_fma_f64 v[10:11], -v[10:11], v[32:33], v[26:27]
	s_nop 1
	v_div_fmas_f64 v[10:11], v[10:11], v[16:17], v[32:33]
	v_div_fixup_f64 v[34:35], v[10:11], v[8:9], v[6:7]
.LBB0_69:
	s_or_b64 exec, exec, s[2:3]
	buffer_load_dword v86, off, s[56:59], 0 offset:288 ; 4-byte Folded Reload
	buffer_load_dword v87, off, s[56:59], 0 offset:292 ; 4-byte Folded Reload
	;; [unrolled: 1-line block ×6, first 2 shown]
	v_mul_f64 v[44:45], v[20:21], v[20:21]
	v_ldexp_f64 v[56:57], v[68:69], -2
	v_mul_f64 v[0:1], v[0:1], v[94:95]
                                        ; implicit-def: $vgpr114_vgpr115
	s_waitcnt vmcnt(2)
	v_add_f64 v[6:7], v[68:69], v[88:89]
	v_mul_f64 v[10:11], v[86:87], v[88:89]
	v_mul_f64 v[8:9], v[6:7], v[6:7]
	v_div_scale_f64 v[16:17], s[0:1], v[8:9], v[8:9], v[10:11]
	v_rcp_f64_e32 v[26:27], v[16:17]
	v_mul_f64 v[6:7], v[6:7], v[8:9]
	v_fma_f64 v[32:33], -v[16:17], v[26:27], 1.0
	v_fmac_f64_e32 v[26:27], v[26:27], v[32:33]
	v_fma_f64 v[32:33], -v[16:17], v[26:27], 1.0
	v_fmac_f64_e32 v[26:27], v[26:27], v[32:33]
	v_div_scale_f64 v[32:33], vcc, v[10:11], v[8:9], v[10:11]
	v_mul_f64 v[40:41], v[32:33], v[26:27]
	v_fma_f64 v[16:17], -v[16:17], v[40:41], v[32:33]
	s_nop 1
	v_div_fmas_f64 v[16:17], v[16:17], v[26:27], v[40:41]
	v_div_fixup_f64 v[10:11], v[16:17], v[8:9], v[10:11]
	v_add_f64 v[26:27], v[10:11], 1.0
	v_div_scale_f64 v[10:11], s[0:1], v[26:27], v[26:27], 1.0
	v_rcp_f64_e32 v[16:17], v[10:11]
	s_mov_b32 s0, 0
	s_mov_b32 s1, 0xc02e0000
	v_fma_f64 v[32:33], -v[10:11], v[16:17], 1.0
	v_fmac_f64_e32 v[16:17], v[16:17], v[32:33]
	v_fma_f64 v[32:33], -v[10:11], v[16:17], 1.0
	v_fmac_f64_e32 v[16:17], v[16:17], v[32:33]
	v_div_scale_f64 v[32:33], vcc, 1.0, v[26:27], 1.0
	v_mul_f64 v[40:41], v[32:33], v[16:17]
	v_fma_f64 v[10:11], -v[10:11], v[40:41], v[32:33]
	s_nop 1
	v_div_fmas_f64 v[48:49], v[10:11], v[16:17], v[40:41]
	v_add_f64 v[10:11], v[4:5], s[0:1]
	s_mov_b32 s0, 0x47ae147b
	s_mov_b32 s1, 0x3f847ae1
	v_mov_b32_e32 v16, 0x3f847ae1
	v_cmp_lt_f64_e64 s[0:1], |v[10:11]|, s[0:1]
	v_cndmask_b32_e64 v41, v11, v16, s[0:1]
	v_mov_b32_e32 v11, 0x47ae147b
	v_cndmask_b32_e64 v40, v10, v11, s[0:1]
	v_mul_f64 v[16:17], v[40:41], v[46:47]
	v_div_scale_f64 v[32:33], s[2:3], v[28:29], v[28:29], v[16:17]
	v_rcp_f64_e32 v[50:51], v[32:33]
	s_mov_b32 s2, 0x652b82fe
	s_mov_b32 s3, 0x3ff71547
	s_waitcnt vmcnt(0)
	v_mul_f64 v[10:11], v[82:83], 4.0
	v_fma_f64 v[58:59], -v[32:33], v[50:51], 1.0
	v_fmac_f64_e32 v[50:51], v[50:51], v[58:59]
	v_fma_f64 v[58:59], -v[32:33], v[50:51], 1.0
	v_fmac_f64_e32 v[50:51], v[50:51], v[58:59]
	v_div_scale_f64 v[58:59], vcc, v[16:17], v[28:29], v[16:17]
	v_mul_f64 v[70:71], v[58:59], v[50:51]
	v_fma_f64 v[32:33], -v[32:33], v[70:71], v[58:59]
	v_mov_b32_e32 v58, 0xfca7ab0c
	s_nop 0
	v_div_fmas_f64 v[32:33], v[32:33], v[50:51], v[70:71]
	v_div_fixup_f64 v[16:17], v[32:33], v[28:29], v[16:17]
	v_mul_f64 v[32:33], v[16:17], s[2:3]
	s_mov_b32 s2, 0xfefa39ef
	v_rndne_f64_e32 v[32:33], v[32:33]
	s_mov_b32 s3, 0xbfe62e42
	v_fma_f64 v[50:51], s[2:3], v[32:33], v[16:17]
	s_mov_b32 s2, 0x3b39803f
	s_mov_b32 s3, 0xbc7abc9e
	v_fmac_f64_e32 v[50:51], s[2:3], v[32:33]
	s_mov_b32 s2, 0x6a5dcb37
	v_mov_b32_e32 v59, 0x3e928af3
	s_mov_b32 s3, 0x3e5ade15
	v_fmac_f64_e32 v[58:59], s[2:3], v[50:51]
	v_mov_b32_e32 v70, 0x623fde64
	v_mov_b32_e32 v71, 0x3ec71dee
	v_fmac_f64_e32 v[70:71], v[50:51], v[58:59]
	v_mov_b32_e32 v58, 0x7c89e6b0
	v_mov_b32_e32 v59, 0x3efa0199
	;; [unrolled: 3-line block ×8, first 2 shown]
	s_mov_b32 s2, 0
	v_fmac_f64_e32 v[58:59], v[50:51], v[70:71]
	s_mov_b32 s3, 0x40900000
	v_fma_f64 v[58:59], v[50:51], v[58:59], 1.0
	v_cmp_nlt_f64_e32 vcc, s[2:3], v[16:17]
	s_mov_b32 s2, 0
	v_fma_f64 v[50:51], v[50:51], v[58:59], 1.0
	v_cvt_i32_f64_e32 v22, v[32:33]
	s_mov_b32 s3, 0xc090cc00
	v_ldexp_f64 v[32:33], v[50:51], v22
	v_mov_b32_e32 v22, 0x7ff00000
	v_cmp_ngt_f64_e64 s[2:3], s[2:3], v[16:17]
	v_cndmask_b32_e32 v22, v22, v33, vcc
	s_and_b64 vcc, s[2:3], vcc
	v_cndmask_b32_e64 v75, 0, v22, s[2:3]
	v_cndmask_b32_e32 v74, 0, v32, vcc
	v_mul_f64 v[10:11], v[10:11], v[44:45]
	v_fma_f64 v[96:97], v[56:57], v[74:75], -v[54:55]
	v_mul_f64 v[100:101], v[10:11], v[96:97]
	v_mul_f64 v[10:11], v[40:41], v[100:101]
	;; [unrolled: 1-line block ×5, first 2 shown]
	v_add_f64 v[92:93], v[74:75], -1.0
	v_mul_f64 v[10:11], v[64:65], v[10:11]
	v_mul_f64 v[98:99], v[28:29], v[92:93]
	v_div_scale_f64 v[16:17], s[2:3], v[98:99], v[98:99], v[10:11]
	v_rcp_f64_e32 v[32:33], v[16:17]
	v_div_fixup_f64 v[48:49], v[48:49], v[26:27], 1.0
	v_mul_f64 v[26:27], v[26:27], v[26:27]
	v_mul_f64 v[6:7], v[6:7], v[26:27]
	v_fma_f64 v[50:51], -v[16:17], v[32:33], 1.0
	v_fmac_f64_e32 v[32:33], v[32:33], v[50:51]
	v_fma_f64 v[50:51], -v[16:17], v[32:33], 1.0
	v_fmac_f64_e32 v[32:33], v[32:33], v[50:51]
	v_div_scale_f64 v[50:51], vcc, v[10:11], v[98:99], v[10:11]
	v_mul_f64 v[56:57], v[50:51], v[32:33]
	v_fma_f64 v[16:17], -v[16:17], v[56:57], v[50:51]
	s_nop 1
	v_div_fmas_f64 v[16:17], v[16:17], v[32:33], v[56:57]
	v_mul_f64 v[32:33], v[110:111], v[24:25]
	v_div_fixup_f64 v[24:25], v[16:17], v[98:99], v[10:11]
	buffer_load_dword v16, off, s[56:59], 0 offset:224 ; 4-byte Folded Reload
	buffer_load_dword v17, off, s[56:59], 0 offset:228 ; 4-byte Folded Reload
	v_div_scale_f64 v[50:51], s[2:3], v[106:107], v[106:107], v[32:33]
	v_rcp_f64_e32 v[56:57], v[50:51]
	v_add_f64 v[10:11], v[120:121], v[34:35]
	v_div_scale_f64 v[34:35], s[2:3], v[106:107], v[106:107], v[0:1]
	s_waitcnt vmcnt(0)
	global_store_dwordx2 v[16:17], v[10:11], off
	v_fma_f64 v[10:11], -v[50:51], v[56:57], 1.0
	v_fmac_f64_e32 v[56:57], v[56:57], v[10:11]
	v_fma_f64 v[10:11], -v[50:51], v[56:57], 1.0
	v_fmac_f64_e32 v[56:57], v[56:57], v[10:11]
	v_div_scale_f64 v[10:11], vcc, v[32:33], v[106:107], v[32:33]
	v_mul_f64 v[16:17], v[10:11], v[56:57]
	v_fma_f64 v[10:11], -v[50:51], v[16:17], v[10:11]
	v_rcp_f64_e32 v[50:51], v[34:35]
	s_nop 0
	v_div_fmas_f64 v[10:11], v[10:11], v[56:57], v[16:17]
	v_div_fixup_f64 v[10:11], v[10:11], v[106:107], v[32:33]
	v_mul_f64 v[56:57], v[14:15], v[24:25]
	v_fma_f64 v[16:17], -v[34:35], v[50:51], 1.0
	v_fmac_f64_e32 v[50:51], v[50:51], v[16:17]
	v_fma_f64 v[16:17], -v[34:35], v[50:51], 1.0
	v_fmac_f64_e32 v[50:51], v[50:51], v[16:17]
	v_div_scale_f64 v[16:17], vcc, v[0:1], v[106:107], v[0:1]
	v_mul_f64 v[32:33], v[16:17], v[50:51]
	v_fma_f64 v[16:17], -v[34:35], v[32:33], v[16:17]
	v_mul_f64 v[34:35], v[106:107], v[46:47]
	v_div_scale_f64 v[46:47], s[2:3], v[34:35], v[34:35], v[56:57]
	v_rcp_f64_e32 v[58:59], v[46:47]
	v_div_fmas_f64 v[16:17], v[16:17], v[50:51], v[32:33]
	v_div_fixup_f64 v[0:1], v[16:17], v[106:107], v[0:1]
	v_add_f64 v[0:1], v[10:11], -v[0:1]
	v_fma_f64 v[10:11], -v[46:47], v[58:59], 1.0
	v_fmac_f64_e32 v[58:59], v[58:59], v[10:11]
	v_fma_f64 v[10:11], -v[46:47], v[58:59], 1.0
	v_fmac_f64_e32 v[58:59], v[58:59], v[10:11]
	v_div_scale_f64 v[10:11], vcc, v[56:57], v[34:35], v[56:57]
	v_mul_f64 v[16:17], v[10:11], v[58:59]
	v_fma_f64 v[10:11], -v[46:47], v[16:17], v[10:11]
	v_mul_f64 v[32:33], v[102:103], v[102:103]
	s_nop 0
	v_div_fmas_f64 v[10:11], v[10:11], v[58:59], v[16:17]
	v_mul_f64 v[16:17], v[68:69], v[112:113]
	v_add_f64 v[16:17], v[16:17], v[16:17]
	v_mul_f64 v[16:17], v[16:17], v[32:33]
	v_mul_f64 v[16:17], v[118:119], v[16:17]
	v_div_scale_f64 v[32:33], s[2:3], v[124:125], v[124:125], v[16:17]
	v_rcp_f64_e32 v[50:51], v[32:33]
	v_div_fixup_f64 v[10:11], v[10:11], v[34:35], v[56:57]
	v_add_f64 v[46:47], v[0:1], -v[10:11]
	v_mul_f64 v[0:1], v[48:49], v[46:47]
	v_fma_f64 v[10:11], -v[32:33], v[50:51], 1.0
	v_fmac_f64_e32 v[50:51], v[50:51], v[10:11]
	v_fma_f64 v[10:11], -v[32:33], v[50:51], 1.0
	v_fmac_f64_e32 v[50:51], v[50:51], v[10:11]
	v_div_scale_f64 v[10:11], vcc, v[16:17], v[124:125], v[16:17]
	v_mul_f64 v[56:57], v[10:11], v[50:51]
	v_fma_f64 v[10:11], -v[32:33], v[56:57], v[10:11]
	v_add_f64 v[32:33], v[68:69], v[68:69]
	v_mul_f64 v[32:33], v[118:119], v[32:33]
	v_mul_f64 v[32:33], v[32:33], v[102:103]
	v_div_scale_f64 v[58:59], s[2:3], v[116:117], v[116:117], v[32:33]
	v_rcp_f64_e32 v[70:71], v[58:59]
	v_div_fmas_f64 v[10:11], v[10:11], v[50:51], v[56:57]
	v_div_fixup_f64 v[10:11], v[10:11], v[124:125], v[16:17]
	v_fma_f64 v[16:17], -v[58:59], v[70:71], 1.0
	v_fmac_f64_e32 v[70:71], v[70:71], v[16:17]
	v_fma_f64 v[16:17], -v[58:59], v[70:71], 1.0
	v_fmac_f64_e32 v[70:71], v[70:71], v[16:17]
	v_div_scale_f64 v[16:17], vcc, v[32:33], v[116:117], v[32:33]
	v_mul_f64 v[50:51], v[16:17], v[70:71]
	v_fma_f64 v[16:17], -v[58:59], v[50:51], v[16:17]
	s_nop 1
	v_div_fmas_f64 v[16:17], v[16:17], v[70:71], v[50:51]
	v_add_f64 v[50:51], v[86:87], v[86:87]
	v_mul_f64 v[50:51], v[50:51], v[88:89]
	v_div_scale_f64 v[8:9], s[2:3], v[6:7], v[6:7], v[50:51]
	v_rcp_f64_e32 v[26:27], v[8:9]
	v_div_fixup_f64 v[16:17], v[16:17], v[116:117], v[32:33]
	v_add_f64 v[10:11], v[16:17], -v[10:11]
	v_fma_f64 v[16:17], v[104:105], v[10:11], -v[126:127]
	v_fma_f64 v[32:33], -v[8:9], v[26:27], 1.0
	v_fmac_f64_e32 v[26:27], v[26:27], v[32:33]
	v_fma_f64 v[32:33], -v[8:9], v[26:27], 1.0
	v_fmac_f64_e32 v[26:27], v[26:27], v[32:33]
	v_div_scale_f64 v[32:33], vcc, v[50:51], v[6:7], v[50:51]
	v_mul_f64 v[56:57], v[32:33], v[26:27]
	v_fma_f64 v[8:9], -v[8:9], v[56:57], v[32:33]
	v_mul_f64 v[32:33], v[82:83], v[44:45]
	v_mul_f64 v[32:33], v[40:41], v[32:33]
	;; [unrolled: 1-line block ×7, first 2 shown]
	v_div_scale_f64 v[58:59], s[2:3], v[98:99], v[98:99], v[32:33]
	v_rcp_f64_e32 v[70:71], v[58:59]
	v_div_fmas_f64 v[8:9], v[8:9], v[26:27], v[56:57]
	v_fmac_f64_e32 v[16:17], v[104:105], v[10:11]
	v_div_fixup_f64 v[6:7], v[8:9], v[6:7], v[50:51]
	v_fma_f64 v[8:9], -v[58:59], v[70:71], 1.0
	v_mul_f64 v[10:11], v[110:111], v[16:17]
	v_fmac_f64_e32 v[70:71], v[70:71], v[8:9]
	v_div_scale_f64 v[16:17], s[2:3], v[106:107], v[106:107], v[10:11]
	v_fma_f64 v[8:9], -v[58:59], v[70:71], 1.0
	v_rcp_f64_e32 v[50:51], v[16:17]
	v_fmac_f64_e32 v[70:71], v[70:71], v[8:9]
	v_div_scale_f64 v[8:9], vcc, v[32:33], v[98:99], v[32:33]
	v_mul_f64 v[26:27], v[8:9], v[70:71]
	v_fma_f64 v[8:9], -v[58:59], v[26:27], v[8:9]
	v_mul_f64 v[6:7], v[6:7], v[46:47]
	s_nop 0
	v_div_fmas_f64 v[8:9], v[8:9], v[70:71], v[26:27]
	v_fma_f64 v[26:27], -v[16:17], v[50:51], 1.0
	v_fmac_f64_e32 v[50:51], v[50:51], v[26:27]
	v_fma_f64 v[26:27], -v[16:17], v[50:51], 1.0
	v_fmac_f64_e32 v[50:51], v[50:51], v[26:27]
	v_div_scale_f64 v[26:27], vcc, v[10:11], v[106:107], v[10:11]
	v_div_fixup_f64 v[8:9], v[8:9], v[98:99], v[32:33]
	v_mul_f64 v[32:33], v[26:27], v[50:51]
	v_fma_f64 v[16:17], -v[16:17], v[32:33], v[26:27]
	v_mul_f64 v[26:27], v[108:109], v[94:95]
	v_div_scale_f64 v[56:57], s[2:3], v[106:107], v[106:107], v[26:27]
	v_rcp_f64_e32 v[58:59], v[56:57]
	v_div_fmas_f64 v[16:17], v[16:17], v[50:51], v[32:33]
	v_div_fixup_f64 v[10:11], v[16:17], v[106:107], v[10:11]
	v_mul_f64 v[8:9], v[14:15], v[8:9]
	v_fma_f64 v[16:17], -v[56:57], v[58:59], 1.0
	v_fmac_f64_e32 v[58:59], v[58:59], v[16:17]
	v_fma_f64 v[16:17], -v[56:57], v[58:59], 1.0
	v_fmac_f64_e32 v[58:59], v[58:59], v[16:17]
	v_div_scale_f64 v[16:17], vcc, v[26:27], v[106:107], v[26:27]
	v_mul_f64 v[32:33], v[16:17], v[58:59]
	v_div_scale_f64 v[50:51], s[2:3], v[34:35], v[34:35], v[8:9]
	v_fma_f64 v[16:17], -v[56:57], v[32:33], v[16:17]
	v_rcp_f64_e32 v[56:57], v[50:51]
	v_div_fmas_f64 v[16:17], v[16:17], v[58:59], v[32:33]
	v_div_fixup_f64 v[16:17], v[16:17], v[106:107], v[26:27]
	v_add_f64 v[10:11], v[10:11], -v[16:17]
	v_fma_f64 v[16:17], -v[50:51], v[56:57], 1.0
	v_fmac_f64_e32 v[56:57], v[56:57], v[16:17]
	v_fma_f64 v[16:17], -v[50:51], v[56:57], 1.0
	v_fmac_f64_e32 v[56:57], v[56:57], v[16:17]
	v_div_scale_f64 v[16:17], vcc, v[8:9], v[34:35], v[8:9]
	v_mul_f64 v[26:27], v[16:17], v[56:57]
	v_fma_f64 v[16:17], -v[50:51], v[26:27], v[16:17]
	s_mov_b32 s2, 0xe2308c3a
	s_nop 0
	v_div_fmas_f64 v[16:17], v[16:17], v[56:57], v[26:27]
	v_div_fixup_f64 v[8:9], v[16:17], v[34:35], v[8:9]
	v_add_f64 v[8:9], v[10:11], -v[8:9]
	v_fmac_f64_e32 v[6:7], v[48:49], v[8:9]
	s_mov_b32 s3, 0x3e45798e
	v_cmp_ngt_f64_e64 s[2:3], |v[6:7]|, s[2:3]
	s_and_saveexec_b64 s[4:5], s[2:3]
	s_xor_b64 s[2:3], exec, s[4:5]
; %bb.70:
	v_mul_f64 v[114:115], v[0:1], s[12:13]
                                        ; implicit-def: $vgpr6_vgpr7
                                        ; implicit-def: $vgpr0_vgpr1
; %bb.71:
	s_andn2_saveexec_b64 s[4:5], s[2:3]
	s_cbranch_execz .LBB0_73
; %bb.72:
	s_mov_b32 s2, 0x652b82fe
	v_mul_f64 v[8:9], v[6:7], s[12:13]
	s_mov_b32 s3, 0x3ff71547
	v_mul_f64 v[10:11], v[8:9], s[2:3]
	s_mov_b32 s2, 0xfefa39ef
	v_rndne_f64_e32 v[10:11], v[10:11]
	s_mov_b32 s3, 0xbfe62e42
	v_fma_f64 v[16:17], s[2:3], v[10:11], v[8:9]
	s_mov_b32 s2, 0x3b39803f
	s_mov_b32 s3, 0xbc7abc9e
	v_fmac_f64_e32 v[16:17], s[2:3], v[10:11]
	s_mov_b32 s2, 0x6a5dcb37
	v_mov_b32_e32 v26, 0xfca7ab0c
	v_mov_b32_e32 v27, 0x3e928af3
	s_mov_b32 s3, 0x3e5ade15
	v_fmac_f64_e32 v[26:27], s[2:3], v[16:17]
	v_mov_b32_e32 v32, 0x623fde64
	v_mov_b32_e32 v33, 0x3ec71dee
	v_fmac_f64_e32 v[32:33], v[16:17], v[26:27]
	v_mov_b32_e32 v26, 0x7c89e6b0
	v_mov_b32_e32 v27, 0x3efa0199
	;; [unrolled: 3-line block ×8, first 2 shown]
	v_fmac_f64_e32 v[26:27], v[16:17], v[32:33]
	s_mov_b32 s2, 0
	v_fma_f64 v[26:27], v[16:17], v[26:27], 1.0
	s_mov_b32 s3, 0x40900000
	v_fma_f64 v[16:17], v[16:17], v[26:27], 1.0
	v_cvt_i32_f64_e32 v10, v[10:11]
	v_cmp_nlt_f64_e32 vcc, s[2:3], v[8:9]
	s_mov_b32 s2, 0
	v_ldexp_f64 v[10:11], v[16:17], v10
	s_mov_b32 s3, 0xc090cc00
	v_add_f64 v[10:11], v[10:11], -1.0
	v_mov_b32_e32 v16, 0x7ff00000
	v_cmp_ngt_f64_e64 s[2:3], s[2:3], v[8:9]
	v_cndmask_b32_e32 v11, v16, v11, vcc
	v_mov_b32_e32 v16, 0xbff00000
	s_and_b64 vcc, s[2:3], vcc
	v_cndmask_b32_e64 v9, v16, v11, s[2:3]
	v_cndmask_b32_e32 v8, 0, v10, vcc
	v_mul_f64 v[0:1], v[0:1], v[8:9]
	v_div_scale_f64 v[8:9], s[2:3], v[6:7], v[6:7], v[0:1]
	v_rcp_f64_e32 v[10:11], v[8:9]
	v_fma_f64 v[16:17], -v[8:9], v[10:11], 1.0
	v_fmac_f64_e32 v[10:11], v[10:11], v[16:17]
	v_fma_f64 v[16:17], -v[8:9], v[10:11], 1.0
	v_fmac_f64_e32 v[10:11], v[10:11], v[16:17]
	v_div_scale_f64 v[16:17], vcc, v[0:1], v[6:7], v[0:1]
	v_mul_f64 v[26:27], v[16:17], v[10:11]
	v_fma_f64 v[8:9], -v[8:9], v[26:27], v[16:17]
	s_nop 1
	v_div_fmas_f64 v[8:9], v[8:9], v[10:11], v[26:27]
	v_div_fixup_f64 v[114:115], v[8:9], v[6:7], v[0:1]
.LBB0_73:
	s_or_b64 exec, exec, s[4:5]
	buffer_load_dword v0, off, s[56:59], 0 offset:272 ; 4-byte Folded Reload
	buffer_load_dword v1, off, s[56:59], 0 offset:276 ; 4-byte Folded Reload
	;; [unrolled: 1-line block ×6, first 2 shown]
	s_mov_b32 s8, 0x652b82fe
	s_mov_b32 s9, 0x3ff71547
	s_mov_b32 s5, 0xbfe62e42
	s_mov_b32 s4, 0xfefa39ef
	s_mov_b32 s7, 0xbc7abc9e
	s_mov_b32 s6, 0x3b39803f
	s_mov_b32 s14, 0x6a5dcb37
	s_mov_b32 s15, 0x3e5ade15
	s_mov_b32 s16, 0x623fde64
	s_mov_b32 s17, 0x3ec71dee
	s_mov_b32 s18, 0x7c89e6b0
	s_mov_b32 s19, 0x3efa0199
	s_mov_b32 s20, 0x14761f6e
	s_mov_b32 s21, 0x3f2a01a0
	s_mov_b32 s22, 0x1852b7b0
	s_mov_b32 s23, 0x3f56c16c
	s_mov_b32 s24, 0x11122322
	s_mov_b32 s25, 0x3f811111
	s_mov_b32 s26, 0x555502a1
	s_mov_b32 s27, 0x3fa55555
	s_mov_b32 s28, 0x55555511
	s_mov_b32 s29, 0x3fc55555
	s_mov_b32 s30, 11
	s_mov_b32 s31, 0x3fe00000
	s_mov_b32 s34, 0
	s_mov_b32 s35, 0x40900000
	s_mov_b32 s36, 0
	v_mov_b32_e32 v22, 0x7ff00000
	s_mov_b32 s37, 0xc090cc00
                                        ; implicit-def: $vgpr118_vgpr119
	s_waitcnt vmcnt(4)
	v_mul_f64 v[86:87], v[0:1], v[80:81]
	s_waitcnt vmcnt(2)
	v_add_f64 v[6:7], v[72:73], v[6:7]
	s_waitcnt vmcnt(0)
	v_add_f64 v[112:113], v[8:9], v[80:81]
	v_mul_f64 v[8:9], v[4:5], -v[20:21]
	v_div_scale_f64 v[10:11], s[2:3], v[28:29], v[28:29], v[8:9]
	v_rcp_f64_e32 v[16:17], v[10:11]
	s_mov_b32 s2, 0xfca7ab0c
	s_mov_b32 s3, 0x3e928af3
	v_mul_f64 v[102:103], v[6:7], v[112:113]
	v_fma_f64 v[26:27], -v[10:11], v[16:17], 1.0
	v_fmac_f64_e32 v[16:17], v[16:17], v[26:27]
	v_fma_f64 v[26:27], -v[10:11], v[16:17], 1.0
	v_fmac_f64_e32 v[16:17], v[16:17], v[26:27]
	v_div_scale_f64 v[26:27], vcc, v[8:9], v[28:29], v[8:9]
	v_mul_f64 v[32:33], v[26:27], v[16:17]
	v_fma_f64 v[10:11], -v[10:11], v[32:33], v[26:27]
	v_pk_mov_b32 v[26:27], s[2:3], s[2:3] op_sel:[0,1]
	s_nop 0
	v_div_fmas_f64 v[10:11], v[10:11], v[16:17], v[32:33]
	v_div_fixup_f64 v[8:9], v[10:11], v[28:29], v[8:9]
	v_mul_f64 v[10:11], v[8:9], s[8:9]
	v_rndne_f64_e32 v[10:11], v[10:11]
	v_fma_f64 v[16:17], s[4:5], v[10:11], v[8:9]
	v_fmac_f64_e32 v[16:17], s[6:7], v[10:11]
	v_fma_f64 v[32:33], s[14:15], v[16:17], v[26:27]
	v_fma_f64 v[32:33], v[16:17], v[32:33], s[16:17]
	;; [unrolled: 1-line block ×9, first 2 shown]
	v_fma_f64 v[32:33], v[16:17], v[32:33], 1.0
	v_fma_f64 v[16:17], v[16:17], v[32:33], 1.0
	v_cvt_i32_f64_e32 v10, v[10:11]
	v_ldexp_f64 v[10:11], v[16:17], v10
	v_cmp_nlt_f64_e32 vcc, s[34:35], v[8:9]
	v_cndmask_b32_e32 v11, v22, v11, vcc
	v_cmp_ngt_f64_e64 s[2:3], s[36:37], v[8:9]
	s_and_b64 vcc, s[2:3], vcc
	v_cndmask_b32_e64 v107, 0, v11, s[2:3]
	s_mov_b32 s2, 0x7318fc50
	v_cndmask_b32_e32 v106, 0, v10, vcc
	s_mov_b32 s3, 0x3fa212d7
	v_fma_f64 v[104:105], v[106:107], s[2:3], 1.0
	s_mov_b32 s2, 0x9999999a
	s_mov_b32 s3, 0xbfb99999
	v_mul_f64 v[10:11], v[20:21], s[2:3]
	v_mul_f64 v[10:11], v[4:5], v[10:11]
	v_div_scale_f64 v[16:17], s[2:3], v[28:29], v[28:29], v[10:11]
	v_rcp_f64_e32 v[32:33], v[16:17]
	v_mul_f64 v[0:1], v[72:73], v[86:87]
	v_mov_b32_e32 v8, 0
	v_mul_f64 v[6:7], v[6:7], v[6:7]
	v_fma_f64 v[34:35], -v[16:17], v[32:33], 1.0
	v_fmac_f64_e32 v[32:33], v[32:33], v[34:35]
	v_fma_f64 v[34:35], -v[16:17], v[32:33], 1.0
	v_fmac_f64_e32 v[32:33], v[32:33], v[34:35]
	v_div_scale_f64 v[34:35], vcc, v[10:11], v[28:29], v[10:11]
	v_mul_f64 v[46:47], v[34:35], v[32:33]
	v_fma_f64 v[16:17], -v[16:17], v[46:47], v[34:35]
	v_mul_f64 v[6:7], v[6:7], v[112:113]
	s_nop 0
	v_div_fmas_f64 v[16:17], v[16:17], v[32:33], v[46:47]
	v_div_fixup_f64 v[10:11], v[16:17], v[28:29], v[10:11]
	v_mul_f64 v[16:17], v[10:11], s[8:9]
	v_rndne_f64_e32 v[16:17], v[16:17]
	v_fma_f64 v[32:33], s[4:5], v[16:17], v[10:11]
	v_fmac_f64_e32 v[32:33], s[6:7], v[16:17]
	v_fmac_f64_e32 v[26:27], s[14:15], v[32:33]
	v_fma_f64 v[26:27], v[32:33], v[26:27], s[16:17]
	v_fma_f64 v[26:27], v[32:33], v[26:27], s[18:19]
	;; [unrolled: 1-line block ×8, first 2 shown]
	v_fma_f64 v[26:27], v[32:33], v[26:27], 1.0
	v_fma_f64 v[26:27], v[32:33], v[26:27], 1.0
	v_cvt_i32_f64_e32 v9, v[16:17]
	v_ldexp_f64 v[16:17], v[26:27], v9
	v_cmp_nlt_f64_e32 vcc, s[34:35], v[10:11]
	v_cndmask_b32_e32 v9, v22, v17, vcc
	v_cmp_ngt_f64_e64 s[2:3], s[36:37], v[10:11]
	s_and_b64 vcc, s[2:3], vcc
	v_cndmask_b32_e64 v109, 0, v9, s[2:3]
	s_mov_b32 s2, 0x645a1cac
	v_cndmask_b32_e32 v108, 0, v16, vcc
	s_mov_b32 s3, 0x3fbfdf3b
	v_fmac_f64_e32 v[104:105], s[2:3], v[108:109]
	v_mul_f64 v[26:27], v[102:103], v[104:105]
	v_div_scale_f64 v[10:11], s[2:3], v[26:27], v[26:27], v[0:1]
	v_rcp_f64_e32 v[16:17], v[10:11]
	v_mov_b32_e32 v9, 0x3ff00000
	s_mov_b32 s5, 0x3fe62e42
	s_mov_b32 s7, 0x3c7abc9e
	v_fma_f64 v[32:33], -v[10:11], v[16:17], 1.0
	v_fmac_f64_e32 v[16:17], v[16:17], v[32:33]
	v_fma_f64 v[32:33], -v[10:11], v[16:17], 1.0
	v_fmac_f64_e32 v[16:17], v[16:17], v[32:33]
	v_div_scale_f64 v[32:33], vcc, v[0:1], v[26:27], v[0:1]
	v_mul_f64 v[34:35], v[32:33], v[16:17]
	v_fma_f64 v[10:11], -v[10:11], v[34:35], v[32:33]
	v_mul_f64 v[6:7], v[6:7], v[104:105]
	s_nop 0
	v_div_fmas_f64 v[10:11], v[10:11], v[16:17], v[34:35]
	v_div_fixup_f64 v[46:47], v[10:11], v[26:27], v[0:1]
	v_div_scale_f64 v[10:11], s[2:3], v[72:73], v[72:73], v[84:85]
	v_rcp_f64_e32 v[16:17], v[10:11]
	s_mov_b32 s2, 0x55555555
	s_mov_b32 s3, 0x3fe55555
	v_fma_f64 v[32:33], -v[10:11], v[16:17], 1.0
	v_fmac_f64_e32 v[16:17], v[16:17], v[32:33]
	v_fma_f64 v[32:33], -v[10:11], v[16:17], 1.0
	v_fmac_f64_e32 v[16:17], v[16:17], v[32:33]
	v_div_scale_f64 v[32:33], vcc, v[84:85], v[72:73], v[84:85]
	v_mul_f64 v[34:35], v[32:33], v[16:17]
	v_fma_f64 v[10:11], -v[10:11], v[34:35], v[32:33]
	s_nop 1
	v_div_fmas_f64 v[10:11], v[10:11], v[16:17], v[34:35]
	v_div_fixup_f64 v[34:35], v[10:11], v[72:73], v[84:85]
	v_frexp_mant_f64_e32 v[10:11], v[34:35]
	v_cmp_gt_f64_e32 vcc, s[2:3], v[10:11]
	v_cndmask_b32_e64 v9, v9, 2.0, vcc
	v_frexp_exp_i32_f64_e32 v16, v[34:35]
	v_mul_f64 v[8:9], v[10:11], v[8:9]
	v_subbrev_co_u32_e32 v22, vcc, 0, v16, vcc
	v_add_f64 v[16:17], v[8:9], 1.0
	v_add_f64 v[32:33], v[16:17], -1.0
	v_add_f64 v[10:11], v[8:9], -1.0
	v_add_f64 v[8:9], v[8:9], -v[32:33]
	v_rcp_f64_e32 v[32:33], v[16:17]
	s_mov_b32 s2, 0xbf559e2b
	s_mov_b32 s3, 0x3fc3ab76
	v_fma_f64 v[48:49], -v[16:17], v[32:33], 1.0
	v_fmac_f64_e32 v[32:33], v[48:49], v[32:33]
	v_fma_f64 v[48:49], -v[16:17], v[32:33], 1.0
	v_fmac_f64_e32 v[32:33], v[48:49], v[32:33]
	v_mul_f64 v[48:49], v[10:11], v[32:33]
	v_mul_f64 v[50:51], v[16:17], v[48:49]
	v_fma_f64 v[16:17], v[48:49], v[16:17], -v[50:51]
	v_fmac_f64_e32 v[16:17], v[48:49], v[8:9]
	v_add_f64 v[8:9], v[50:51], v[16:17]
	v_add_f64 v[56:57], v[10:11], -v[8:9]
	v_add_f64 v[50:51], v[8:9], -v[50:51]
	;; [unrolled: 1-line block ×5, first 2 shown]
	v_add_f64 v[8:9], v[10:11], v[8:9]
	v_add_f64 v[8:9], v[56:57], v[8:9]
	v_mul_f64 v[8:9], v[32:33], v[8:9]
	v_add_f64 v[10:11], v[48:49], v[8:9]
	v_add_f64 v[16:17], v[10:11], -v[48:49]
	v_add_f64 v[8:9], v[8:9], -v[16:17]
	v_mul_f64 v[16:17], v[10:11], v[10:11]
	v_mov_b32_e32 v32, 0x6b47b09a
	v_mov_b32_e32 v33, 0x3fc38538
	v_fmac_f64_e32 v[32:33], s[2:3], v[16:17]
	v_mov_b32_e32 v48, 0xd7f4df2e
	v_mov_b32_e32 v49, 0x3fc7474d
	v_fmac_f64_e32 v[48:49], v[16:17], v[32:33]
	v_mov_b32_e32 v32, 0x16291751
	v_mov_b32_e32 v33, 0x3fcc71c0
	v_fmac_f64_e32 v[32:33], v[16:17], v[48:49]
	v_mov_b32_e32 v48, 0x9b27acf1
	v_mov_b32_e32 v49, 0x3fd24924
	v_fmac_f64_e32 v[48:49], v[16:17], v[32:33]
	v_mov_b32_e32 v32, 0x998ef7b6
	v_mov_b32_e32 v33, 0x3fd99999
	v_fmac_f64_e32 v[32:33], v[16:17], v[48:49]
	v_mov_b32_e32 v48, 0x55555780
	v_mov_b32_e32 v49, 0x3fe55555
	v_fmac_f64_e32 v[48:49], v[16:17], v[32:33]
	v_ldexp_f64 v[32:33], v[10:11], 1
	v_mul_f64 v[10:11], v[10:11], v[16:17]
	v_mul_f64 v[10:11], v[10:11], v[48:49]
	v_add_f64 v[16:17], v[32:33], v[10:11]
	v_add_f64 v[32:33], v[16:17], -v[32:33]
	v_ldexp_f64 v[8:9], v[8:9], 1
	v_add_f64 v[10:11], v[10:11], -v[32:33]
	v_add_f64 v[8:9], v[8:9], v[10:11]
	v_add_f64 v[10:11], v[16:17], v[8:9]
	v_add_f64 v[16:17], v[10:11], -v[16:17]
	v_add_f64 v[8:9], v[8:9], -v[16:17]
	v_cvt_f64_i32_e32 v[16:17], v22
	v_mul_f64 v[32:33], v[16:17], s[4:5]
	v_fma_f64 v[48:49], v[16:17], s[4:5], -v[32:33]
	v_fmac_f64_e32 v[48:49], s[6:7], v[16:17]
	v_add_f64 v[16:17], v[32:33], v[48:49]
	v_add_f64 v[32:33], v[16:17], -v[32:33]
	v_add_f64 v[32:33], v[48:49], -v[32:33]
	v_add_f64 v[48:49], v[16:17], v[10:11]
	v_add_f64 v[50:51], v[48:49], -v[16:17]
	v_add_f64 v[56:57], v[48:49], -v[50:51]
	;; [unrolled: 1-line block ×4, first 2 shown]
	v_add_f64 v[10:11], v[10:11], v[16:17]
	v_add_f64 v[16:17], v[32:33], v[8:9]
	v_add_f64 v[50:51], v[16:17], -v[32:33]
	v_add_f64 v[56:57], v[16:17], -v[50:51]
	v_add_f64 v[10:11], v[16:17], v[10:11]
	v_add_f64 v[32:33], v[32:33], -v[56:57]
	v_add_f64 v[8:9], v[8:9], -v[50:51]
	v_add_f64 v[16:17], v[48:49], v[10:11]
	v_add_f64 v[8:9], v[8:9], v[32:33]
	v_add_f64 v[32:33], v[16:17], -v[48:49]
	v_add_f64 v[10:11], v[10:11], -v[32:33]
	v_add_f64 v[8:9], v[8:9], v[10:11]
	s_movk_i32 s2, 0x204
	v_add_f64 v[8:9], v[16:17], v[8:9]
	v_cmp_class_f64_e64 vcc, v[34:35], s2
	v_cndmask_b32_e32 v8, v8, v34, vcc
	v_cndmask_b32_e32 v9, v9, v35, vcc
	v_cmp_ngt_f64_e32 vcc, 0, v[34:35]
	v_mov_b32_e32 v10, 0x7ff80000
	v_cndmask_b32_e32 v9, v10, v9, vcc
	v_cmp_nge_f64_e32 vcc, 0, v[34:35]
	v_cndmask_b32_e32 v8, 0, v8, vcc
	v_cmp_neq_f64_e32 vcc, 0, v[34:35]
	v_mov_b32_e32 v10, 0xfff00000
	v_cndmask_b32_e32 v9, v10, v9, vcc
	v_mul_f64 v[8:9], v[8:9], v[28:29]
	v_div_scale_f64 v[10:11], s[2:3], v[20:21], v[20:21], v[8:9]
	v_rcp_f64_e32 v[16:17], v[10:11]
	v_mul_f64 v[56:57], v[20:21], v[94:95]
	s_mov_b32 s2, 0
	s_mov_b32 s3, 0xc0080000
	v_fma_f64 v[32:33], -v[10:11], v[16:17], 1.0
	v_fmac_f64_e32 v[16:17], v[16:17], v[32:33]
	v_fma_f64 v[32:33], -v[10:11], v[16:17], 1.0
	v_fmac_f64_e32 v[16:17], v[16:17], v[32:33]
	v_div_scale_f64 v[32:33], vcc, v[8:9], v[20:21], v[8:9]
	v_mul_f64 v[34:35], v[32:33], v[16:17]
	v_fma_f64 v[10:11], -v[10:11], v[34:35], v[32:33]
	s_nop 1
	v_div_fmas_f64 v[10:11], v[10:11], v[16:17], v[34:35]
	buffer_load_dword v16, off, s[56:59], 0 offset:48 ; 4-byte Folded Reload
	buffer_load_dword v17, off, s[56:59], 0 offset:52 ; 4-byte Folded Reload
	v_div_fixup_f64 v[8:9], v[10:11], v[20:21], v[8:9]
	v_add_f64 v[8:9], v[4:5], -v[8:9]
	s_waitcnt vmcnt(0)
	v_mul_f64 v[10:11], v[16:17], v[16:17]
	v_mul_f64 v[10:11], v[16:17], v[10:11]
	buffer_load_dword v16, off, s[56:59], 0 offset:232 ; 4-byte Folded Reload
	buffer_load_dword v17, off, s[56:59], 0 offset:236 ; 4-byte Folded Reload
	;; [unrolled: 1-line block ×4, first 2 shown]
	s_waitcnt vmcnt(2)
	v_mul_f64 v[10:11], v[10:11], v[16:17]
	v_mul_f64 v[16:17], v[10:11], v[8:9]
	;; [unrolled: 1-line block ×4, first 2 shown]
	v_add_f64 v[16:17], v[68:69], v[114:115]
	s_waitcnt vmcnt(0)
	global_store_dwordx2 v[22:23], v[16:17], off
	buffer_load_dword v22, off, s[56:59], 0 offset:8 ; 4-byte Folded Reload
	s_nop 0
	buffer_load_dword v23, off, s[56:59], 0 offset:12 ; 4-byte Folded Reload
	buffer_load_dword v32, off, s[56:59], 0 offset:112 ; 4-byte Folded Reload
	;; [unrolled: 1-line block ×3, first 2 shown]
	s_waitcnt vmcnt(2)
	v_fma_f64 v[16:17], -v[22:23], v[8:9], -v[110:111]
	s_waitcnt vmcnt(0)
	v_fmac_f64_e32 v[16:17], 0xc0080000, v[32:33]
	v_fmac_f64_e32 v[16:17], 0xc0080000, v[46:47]
	v_mul_f64 v[16:17], v[14:15], v[16:17]
	v_div_scale_f64 v[32:33], s[4:5], v[56:57], v[56:57], v[16:17]
	v_rcp_f64_e32 v[34:35], v[32:33]
	v_fma_f64 v[48:49], -v[32:33], v[34:35], 1.0
	v_fmac_f64_e32 v[34:35], v[34:35], v[48:49]
	v_fma_f64 v[48:49], -v[32:33], v[34:35], 1.0
	v_fmac_f64_e32 v[34:35], v[34:35], v[48:49]
	v_div_scale_f64 v[48:49], vcc, v[16:17], v[56:57], v[16:17]
	v_mul_f64 v[50:51], v[48:49], v[34:35]
	v_fma_f64 v[32:33], -v[32:33], v[50:51], v[48:49]
	s_nop 1
	v_div_fmas_f64 v[32:33], v[32:33], v[34:35], v[50:51]
	v_div_fixup_f64 v[34:35], v[32:33], v[56:57], v[16:17]
	buffer_load_dword v16, off, s[56:59], 0 offset:32 ; 4-byte Folded Reload
	buffer_load_dword v17, off, s[56:59], 0 offset:36 ; 4-byte Folded Reload
	;; [unrolled: 1-line block ×4, first 2 shown]
	s_waitcnt vmcnt(0)
	v_mul_f64 v[88:89], v[32:33], -v[16:17]
	v_mul_f64 v[16:17], v[72:73], v[20:21]
	v_div_scale_f64 v[32:33], s[4:5], v[16:17], v[16:17], v[88:89]
	v_rcp_f64_e32 v[48:49], v[32:33]
	s_mov_b32 s4, 0
	s_mov_b32 s5, 0x40080000
	v_fma_f64 v[50:51], -v[32:33], v[48:49], 1.0
	v_fmac_f64_e32 v[48:49], v[48:49], v[50:51]
	v_fma_f64 v[50:51], -v[32:33], v[48:49], 1.0
	v_fmac_f64_e32 v[48:49], v[48:49], v[50:51]
	v_div_scale_f64 v[50:51], vcc, v[88:89], v[16:17], v[88:89]
	v_mul_f64 v[58:59], v[50:51], v[48:49]
	v_fma_f64 v[32:33], -v[32:33], v[58:59], v[50:51]
	s_nop 1
	v_div_fmas_f64 v[32:33], v[32:33], v[48:49], v[58:59]
	buffer_load_dword v48, off, s[56:59], 0 offset:24 ; 4-byte Folded Reload
	buffer_load_dword v49, off, s[56:59], 0 offset:28 ; 4-byte Folded Reload
	v_div_fixup_f64 v[16:17], v[32:33], v[16:17], v[88:89]
	v_mul_f64 v[32:33], v[54:55], s[4:5]
	s_waitcnt vmcnt(0)
	v_mul_f64 v[32:33], v[48:49], v[32:33]
	v_mul_f64 v[2:3], v[2:3], v[32:33]
	;; [unrolled: 1-line block ×3, first 2 shown]
	v_div_scale_f64 v[32:33], s[4:5], v[76:77], v[76:77], v[2:3]
	v_rcp_f64_e32 v[48:49], v[32:33]
	v_fma_f64 v[50:51], -v[32:33], v[48:49], 1.0
	v_fmac_f64_e32 v[48:49], v[48:49], v[50:51]
	v_fma_f64 v[50:51], -v[32:33], v[48:49], 1.0
	v_fmac_f64_e32 v[48:49], v[48:49], v[50:51]
	v_div_scale_f64 v[50:51], vcc, v[2:3], v[76:77], v[2:3]
	v_mul_f64 v[58:59], v[50:51], v[48:49]
	v_fma_f64 v[32:33], -v[32:33], v[58:59], v[50:51]
	s_nop 1
	v_div_fmas_f64 v[32:33], v[32:33], v[48:49], v[58:59]
	v_div_scale_f64 v[48:49], s[4:5], v[26:27], v[26:27], v[86:87]
	v_rcp_f64_e32 v[50:51], v[48:49]
	v_div_fixup_f64 v[32:33], v[32:33], v[76:77], v[2:3]
	v_mul_f64 v[2:3], v[90:91], v[10:11]
	v_mul_f64 v[10:11], v[36:37], v[2:3]
	v_fma_f64 v[58:59], -v[48:49], v[50:51], 1.0
	v_fmac_f64_e32 v[50:51], v[50:51], v[58:59]
	v_fma_f64 v[58:59], -v[48:49], v[50:51], 1.0
	v_fmac_f64_e32 v[50:51], v[50:51], v[58:59]
	v_div_scale_f64 v[58:59], vcc, v[86:87], v[26:27], v[86:87]
	v_mul_f64 v[70:71], v[58:59], v[50:51]
	v_fma_f64 v[48:49], -v[48:49], v[70:71], v[58:59]
	s_nop 1
	v_div_fmas_f64 v[48:49], v[48:49], v[50:51], v[70:71]
	v_div_fixup_f64 v[26:27], v[48:49], v[26:27], v[86:87]
	v_div_scale_f64 v[48:49], s[4:5], v[6:7], v[6:7], v[0:1]
	v_rcp_f64_e32 v[50:51], v[48:49]
	v_fma_f64 v[58:59], -v[48:49], v[50:51], 1.0
	v_fmac_f64_e32 v[50:51], v[50:51], v[58:59]
	v_fma_f64 v[58:59], -v[48:49], v[50:51], 1.0
	v_fmac_f64_e32 v[50:51], v[50:51], v[58:59]
	v_div_scale_f64 v[58:59], vcc, v[0:1], v[6:7], v[0:1]
	v_mul_f64 v[70:71], v[58:59], v[50:51]
	v_fma_f64 v[48:49], -v[48:49], v[70:71], v[58:59]
	s_nop 1
	v_div_fmas_f64 v[48:49], v[48:49], v[50:51], v[70:71]
	v_div_fixup_f64 v[0:1], v[48:49], v[6:7], v[0:1]
	v_add_f64 v[0:1], v[26:27], -v[0:1]
	v_mul_f64 v[0:1], v[0:1], s[2:3]
	v_fmac_f64_e32 v[0:1], 0xc0080000, v[32:33]
	v_fmac_f64_e32 v[0:1], v[22:23], v[16:17]
	;; [unrolled: 1-line block ×3, first 2 shown]
	v_mul_f64 v[0:1], v[14:15], v[0:1]
	v_div_scale_f64 v[6:7], s[2:3], v[56:57], v[56:57], v[0:1]
	v_rcp_f64_e32 v[10:11], v[6:7]
	s_mov_b32 s2, 0xe2308c3a
	s_mov_b32 s3, 0x3e45798e
	v_fma_f64 v[16:17], -v[6:7], v[10:11], 1.0
	v_fmac_f64_e32 v[10:11], v[10:11], v[16:17]
	v_fma_f64 v[16:17], -v[6:7], v[10:11], 1.0
	v_fmac_f64_e32 v[10:11], v[10:11], v[16:17]
	v_div_scale_f64 v[16:17], vcc, v[0:1], v[56:57], v[0:1]
	v_mul_f64 v[26:27], v[16:17], v[10:11]
	v_fma_f64 v[6:7], -v[6:7], v[26:27], v[16:17]
	s_nop 1
	v_div_fmas_f64 v[6:7], v[6:7], v[10:11], v[26:27]
	v_div_fixup_f64 v[0:1], v[6:7], v[56:57], v[0:1]
	v_cmp_ngt_f64_e64 s[2:3], |v[0:1]|, s[2:3]
	s_and_saveexec_b64 s[4:5], s[2:3]
	s_xor_b64 s[2:3], exec, s[4:5]
; %bb.74:
	v_mul_f64 v[118:119], v[34:35], s[12:13]
                                        ; implicit-def: $vgpr0_vgpr1
                                        ; implicit-def: $vgpr34_vgpr35
; %bb.75:
	s_or_saveexec_b64 s[4:5], s[2:3]
	buffer_load_dword v6, off, s[56:59], 0 offset:8 ; 4-byte Folded Reload
	buffer_load_dword v7, off, s[56:59], 0 offset:12 ; 4-byte Folded Reload
	s_waitcnt vmcnt(0)
	v_mul_f64 v[90:91], v[6:7], v[8:9]
	s_xor_b64 exec, exec, s[4:5]
	s_cbranch_execz .LBB0_77
; %bb.76:
	s_mov_b32 s2, 0x652b82fe
	v_mul_f64 v[6:7], v[0:1], s[12:13]
	s_mov_b32 s3, 0x3ff71547
	v_mul_f64 v[8:9], v[6:7], s[2:3]
	s_mov_b32 s2, 0xfefa39ef
	v_rndne_f64_e32 v[8:9], v[8:9]
	s_mov_b32 s3, 0xbfe62e42
	v_fma_f64 v[10:11], s[2:3], v[8:9], v[6:7]
	s_mov_b32 s2, 0x3b39803f
	s_mov_b32 s3, 0xbc7abc9e
	v_fmac_f64_e32 v[10:11], s[2:3], v[8:9]
	s_mov_b32 s2, 0x6a5dcb37
	v_mov_b32_e32 v16, 0xfca7ab0c
	v_mov_b32_e32 v17, 0x3e928af3
	s_mov_b32 s3, 0x3e5ade15
	v_fmac_f64_e32 v[16:17], s[2:3], v[10:11]
	v_mov_b32_e32 v26, 0x623fde64
	v_mov_b32_e32 v27, 0x3ec71dee
	v_fmac_f64_e32 v[26:27], v[10:11], v[16:17]
	v_mov_b32_e32 v16, 0x7c89e6b0
	v_mov_b32_e32 v17, 0x3efa0199
	;; [unrolled: 3-line block ×8, first 2 shown]
	v_fmac_f64_e32 v[16:17], v[10:11], v[26:27]
	s_mov_b32 s2, 0
	v_fma_f64 v[16:17], v[10:11], v[16:17], 1.0
	s_mov_b32 s3, 0x40900000
	v_fma_f64 v[10:11], v[10:11], v[16:17], 1.0
	v_cvt_i32_f64_e32 v8, v[8:9]
	v_cmp_nlt_f64_e32 vcc, s[2:3], v[6:7]
	s_mov_b32 s2, 0
	v_ldexp_f64 v[8:9], v[10:11], v8
	s_mov_b32 s3, 0xc090cc00
	v_add_f64 v[8:9], v[8:9], -1.0
	v_mov_b32_e32 v10, 0x7ff00000
	v_cmp_ngt_f64_e64 s[2:3], s[2:3], v[6:7]
	v_cndmask_b32_e32 v9, v10, v9, vcc
	v_mov_b32_e32 v10, 0xbff00000
	s_and_b64 vcc, s[2:3], vcc
	v_cndmask_b32_e64 v7, v10, v9, s[2:3]
	v_cndmask_b32_e32 v6, 0, v8, vcc
	v_mul_f64 v[6:7], v[6:7], v[34:35]
	v_div_scale_f64 v[8:9], s[2:3], v[0:1], v[0:1], v[6:7]
	v_rcp_f64_e32 v[10:11], v[8:9]
	v_fma_f64 v[16:17], -v[8:9], v[10:11], 1.0
	v_fmac_f64_e32 v[10:11], v[10:11], v[16:17]
	v_fma_f64 v[16:17], -v[8:9], v[10:11], 1.0
	v_fmac_f64_e32 v[10:11], v[10:11], v[16:17]
	v_div_scale_f64 v[16:17], vcc, v[6:7], v[0:1], v[6:7]
	v_mul_f64 v[26:27], v[16:17], v[10:11]
	v_fma_f64 v[8:9], -v[8:9], v[26:27], v[16:17]
	s_nop 1
	v_div_fmas_f64 v[8:9], v[8:9], v[10:11], v[26:27]
	v_div_fixup_f64 v[118:119], v[8:9], v[0:1], v[6:7]
.LBB0_77:
	s_or_b64 exec, exec, s[4:5]
	buffer_load_dword v22, off, s[56:59], 0 ; 4-byte Folded Reload
	buffer_load_dword v23, off, s[56:59], 0 offset:4 ; 4-byte Folded Reload
	s_mov_b32 s38, 0x55555555
	s_mov_b32 s39, 0x3fe55555
	v_mov_b32_e32 v32, 0x3ff00000
	s_mov_b32 s40, 0xbf559e2b
	s_mov_b32 s41, 0x3fc3ab76
	;; [unrolled: 1-line block ×16, first 2 shown]
	s_movk_i32 s33, 0x204
	s_mov_b32 s4, 0x652b82fe
	s_mov_b32 s5, 0x3ff71547
	;; [unrolled: 1-line block ×6, first 2 shown]
	v_mov_b32_e32 v33, 0x7ff00000
	s_waitcnt vmcnt(0)
	v_div_scale_f64 v[0:1], s[2:3], v[22:23], v[22:23], v[80:81]
	v_rcp_f64_e32 v[6:7], v[0:1]
	s_mov_b32 s2, 0x6b47b09a
	s_mov_b32 s3, 0x3fc38538
	v_fma_f64 v[8:9], -v[0:1], v[6:7], 1.0
	v_fmac_f64_e32 v[6:7], v[6:7], v[8:9]
	v_fma_f64 v[8:9], -v[0:1], v[6:7], 1.0
	v_fmac_f64_e32 v[6:7], v[6:7], v[8:9]
	v_div_scale_f64 v[8:9], vcc, v[80:81], v[22:23], v[80:81]
	v_mul_f64 v[10:11], v[8:9], v[6:7]
	v_fma_f64 v[0:1], -v[0:1], v[10:11], v[8:9]
	s_nop 1
	v_div_fmas_f64 v[0:1], v[0:1], v[6:7], v[10:11]
	v_div_fixup_f64 v[6:7], v[0:1], v[22:23], v[80:81]
	v_frexp_mant_f64_e32 v[8:9], v[6:7]
	v_cmp_gt_f64_e32 vcc, s[38:39], v[8:9]
	v_cndmask_b32_e64 v1, v32, 2.0, vcc
	v_mov_b32_e32 v0, 0
	v_mul_f64 v[8:9], v[8:9], v[0:1]
	v_add_f64 v[10:11], v[8:9], 1.0
	v_rcp_f64_e32 v[16:17], v[10:11]
	v_frexp_exp_i32_f64_e32 v1, v[6:7]
	v_subbrev_co_u32_e32 v1, vcc, 0, v1, vcc
	v_fma_f64 v[26:27], -v[10:11], v[16:17], 1.0
	v_fmac_f64_e32 v[16:17], v[26:27], v[16:17]
	v_fma_f64 v[26:27], -v[10:11], v[16:17], 1.0
	v_fmac_f64_e32 v[16:17], v[26:27], v[16:17]
	v_add_f64 v[26:27], v[10:11], -1.0
	v_add_f64 v[26:27], v[8:9], -v[26:27]
	v_add_f64 v[8:9], v[8:9], -1.0
	v_mul_f64 v[34:35], v[8:9], v[16:17]
	v_mul_f64 v[48:49], v[10:11], v[34:35]
	v_fma_f64 v[10:11], v[34:35], v[10:11], -v[48:49]
	v_fmac_f64_e32 v[10:11], v[34:35], v[26:27]
	v_add_f64 v[26:27], v[48:49], v[10:11]
	v_add_f64 v[50:51], v[8:9], -v[26:27]
	v_add_f64 v[48:49], v[26:27], -v[48:49]
	;; [unrolled: 1-line block ×5, first 2 shown]
	v_add_f64 v[8:9], v[10:11], v[8:9]
	v_add_f64 v[8:9], v[50:51], v[8:9]
	v_mul_f64 v[8:9], v[16:17], v[8:9]
	v_add_f64 v[10:11], v[34:35], v[8:9]
	v_add_f64 v[16:17], v[10:11], -v[34:35]
	v_add_f64 v[8:9], v[8:9], -v[16:17]
	v_mul_f64 v[16:17], v[10:11], v[10:11]
	v_pk_mov_b32 v[34:35], s[2:3], s[2:3] op_sel:[0,1]
	v_fma_f64 v[26:27], s[40:41], v[16:17], v[34:35]
	v_fma_f64 v[26:27], v[16:17], v[26:27], s[42:43]
	;; [unrolled: 1-line block ×6, first 2 shown]
	v_mul_f64 v[16:17], v[10:11], v[16:17]
	v_mul_f64 v[16:17], v[16:17], v[26:27]
	v_ldexp_f64 v[10:11], v[10:11], 1
	v_add_f64 v[26:27], v[10:11], v[16:17]
	v_add_f64 v[10:11], v[26:27], -v[10:11]
	v_add_f64 v[10:11], v[16:17], -v[10:11]
	v_ldexp_f64 v[8:9], v[8:9], 1
	v_add_f64 v[8:9], v[8:9], v[10:11]
	v_add_f64 v[10:11], v[26:27], v[8:9]
	v_add_f64 v[16:17], v[10:11], -v[26:27]
	v_add_f64 v[8:9], v[8:9], -v[16:17]
	v_cvt_f64_i32_e32 v[16:17], v1
	v_mul_f64 v[26:27], v[16:17], s[52:53]
	v_fma_f64 v[48:49], v[16:17], s[52:53], -v[26:27]
	v_fmac_f64_e32 v[48:49], s[54:55], v[16:17]
	v_add_f64 v[16:17], v[26:27], v[48:49]
	v_add_f64 v[26:27], v[16:17], -v[26:27]
	v_add_f64 v[26:27], v[48:49], -v[26:27]
	v_add_f64 v[48:49], v[16:17], v[10:11]
	v_add_f64 v[50:51], v[48:49], -v[16:17]
	v_add_f64 v[58:59], v[48:49], -v[50:51]
	;; [unrolled: 1-line block ×4, first 2 shown]
	v_add_f64 v[10:11], v[10:11], v[16:17]
	v_add_f64 v[16:17], v[26:27], v[8:9]
	v_add_f64 v[50:51], v[16:17], -v[26:27]
	v_add_f64 v[58:59], v[16:17], -v[50:51]
	v_add_f64 v[10:11], v[16:17], v[10:11]
	v_add_f64 v[26:27], v[26:27], -v[58:59]
	v_add_f64 v[8:9], v[8:9], -v[50:51]
	v_add_f64 v[16:17], v[48:49], v[10:11]
	v_add_f64 v[8:9], v[8:9], v[26:27]
	v_add_f64 v[26:27], v[16:17], -v[48:49]
	v_add_f64 v[10:11], v[10:11], -v[26:27]
	v_add_f64 v[8:9], v[8:9], v[10:11]
	v_add_f64 v[8:9], v[16:17], v[8:9]
	v_cmp_class_f64_e64 vcc, v[6:7], s33
	v_cndmask_b32_e32 v1, v8, v6, vcc
	v_cndmask_b32_e32 v8, v9, v7, vcc
	v_mov_b32_e32 v9, 0x7ff80000
	v_cmp_ngt_f64_e32 vcc, 0, v[6:7]
	v_cndmask_b32_e32 v10, v9, v8, vcc
	v_mov_b32_e32 v8, 0xfff00000
	v_cmp_neq_f64_e32 vcc, 0, v[6:7]
	v_cmp_nge_f64_e64 s[2:3], 0, v[6:7]
	v_cndmask_b32_e64 v6, 0, v1, s[2:3]
	v_cndmask_b32_e32 v7, v8, v10, vcc
	v_mul_f64 v[6:7], v[28:29], v[6:7]
	v_div_scale_f64 v[10:11], s[2:3], v[20:21], v[20:21], v[6:7]
	v_rcp_f64_e32 v[16:17], v[10:11]
	s_mov_b32 s2, 0x41ed2a05
	s_mov_b32 s3, 0xbfc56799
	v_fma_f64 v[26:27], -v[10:11], v[16:17], 1.0
	v_fmac_f64_e32 v[16:17], v[16:17], v[26:27]
	v_fma_f64 v[26:27], -v[10:11], v[16:17], 1.0
	v_fmac_f64_e32 v[16:17], v[16:17], v[26:27]
	v_div_scale_f64 v[26:27], vcc, v[6:7], v[20:21], v[6:7]
	v_mul_f64 v[48:49], v[26:27], v[16:17]
	v_fma_f64 v[10:11], -v[10:11], v[48:49], v[26:27]
	s_nop 1
	v_div_fmas_f64 v[10:11], v[10:11], v[16:17], v[48:49]
	v_div_fixup_f64 v[6:7], v[10:11], v[20:21], v[6:7]
	v_mul_f64 v[10:11], v[4:5], s[2:3]
	v_mul_f64 v[16:17], v[10:11], s[4:5]
	v_rndne_f64_e32 v[16:17], v[16:17]
	s_mov_b32 s2, 0xfca7ab0c
	v_fma_f64 v[48:49], s[6:7], v[16:17], v[10:11]
	s_mov_b32 s3, 0x3e928af3
	v_fmac_f64_e32 v[48:49], s[8:9], v[16:17]
	v_pk_mov_b32 v[26:27], s[2:3], s[2:3] op_sel:[0,1]
	v_fma_f64 v[50:51], s[14:15], v[48:49], v[26:27]
	v_fma_f64 v[50:51], v[48:49], v[50:51], s[16:17]
	;; [unrolled: 1-line block ×9, first 2 shown]
	v_fma_f64 v[50:51], v[48:49], v[50:51], 1.0
	v_fma_f64 v[48:49], v[48:49], v[50:51], 1.0
	v_cvt_i32_f64_e32 v1, v[16:17]
	v_ldexp_f64 v[16:17], v[48:49], v1
	v_cmp_nlt_f64_e32 vcc, s[34:35], v[10:11]
	v_cndmask_b32_e32 v1, v33, v17, vcc
	v_cmp_ngt_f64_e64 s[2:3], s[36:37], v[10:11]
	v_cndmask_b32_e64 v127, 0, v1, s[2:3]
	s_and_b64 vcc, s[2:3], vcc
	s_mov_b32 s2, 0xe01dcc3
	v_cndmask_b32_e32 v126, 0, v16, vcc
	s_mov_b32 s3, 0x405059ef
	v_add_f64 v[114:115], v[4:5], -v[6:7]
	v_mul_f64 v[116:117], v[12:13], v[114:115]
	v_fma_f64 v[94:95], v[126:127], s[2:3], 1.0
	v_div_scale_f64 v[10:11], s[2:3], v[94:95], v[94:95], v[116:117]
	v_rcp_f64_e32 v[16:17], v[10:11]
	v_fma_f64 v[48:49], -v[10:11], v[16:17], 1.0
	v_fmac_f64_e32 v[16:17], v[16:17], v[48:49]
	v_fma_f64 v[48:49], -v[10:11], v[16:17], 1.0
	v_fmac_f64_e32 v[16:17], v[16:17], v[48:49]
	v_div_scale_f64 v[48:49], vcc, v[116:117], v[94:95], v[116:117]
	v_mul_f64 v[50:51], v[48:49], v[16:17]
	v_fma_f64 v[10:11], -v[10:11], v[50:51], v[48:49]
	s_nop 1
	v_div_fmas_f64 v[120:121], v[10:11], v[16:17], v[50:51]
	buffer_load_dword v16, off, s[56:59], 0 offset:216 ; 4-byte Folded Reload
	buffer_load_dword v17, off, s[56:59], 0 offset:220 ; 4-byte Folded Reload
	s_waitcnt vmcnt(0)
	v_fma_f64 v[10:11], v[16:17], v[84:85], v[80:81]
	v_fma_f64 v[84:85], v[72:73], v[16:17], v[22:23]
	v_div_scale_f64 v[16:17], s[2:3], v[84:85], v[84:85], v[10:11]
	v_rcp_f64_e32 v[48:49], v[16:17]
	v_pk_mov_b32 v[22:23], v[72:73], v[72:73] op_sel:[0,1]
	v_fma_f64 v[50:51], -v[16:17], v[48:49], 1.0
	v_fmac_f64_e32 v[48:49], v[48:49], v[50:51]
	v_fma_f64 v[50:51], -v[16:17], v[48:49], 1.0
	v_fmac_f64_e32 v[48:49], v[48:49], v[50:51]
	v_div_scale_f64 v[50:51], vcc, v[10:11], v[84:85], v[10:11]
	v_mul_f64 v[58:59], v[50:51], v[48:49]
	v_fma_f64 v[16:17], -v[16:17], v[58:59], v[50:51]
	s_nop 1
	v_div_fmas_f64 v[16:17], v[16:17], v[48:49], v[58:59]
	v_div_fixup_f64 v[10:11], v[16:17], v[84:85], v[10:11]
	v_frexp_mant_f64_e32 v[16:17], v[10:11]
	v_cmp_gt_f64_e32 vcc, s[38:39], v[16:17]
	v_cndmask_b32_e64 v1, v32, 2.0, vcc
	v_mul_f64 v[16:17], v[16:17], v[0:1]
	v_add_f64 v[48:49], v[16:17], 1.0
	v_rcp_f64_e32 v[50:51], v[48:49]
	v_frexp_exp_i32_f64_e32 v1, v[10:11]
	v_subbrev_co_u32_e32 v1, vcc, 0, v1, vcc
	v_fma_f64 v[58:59], -v[48:49], v[50:51], 1.0
	v_fmac_f64_e32 v[50:51], v[58:59], v[50:51]
	v_fma_f64 v[58:59], -v[48:49], v[50:51], 1.0
	v_fmac_f64_e32 v[50:51], v[58:59], v[50:51]
	v_add_f64 v[58:59], v[48:49], -1.0
	v_add_f64 v[58:59], v[16:17], -v[58:59]
	v_add_f64 v[16:17], v[16:17], -1.0
	v_mul_f64 v[70:71], v[16:17], v[50:51]
	v_mul_f64 v[82:83], v[48:49], v[70:71]
	v_fma_f64 v[48:49], v[70:71], v[48:49], -v[82:83]
	v_fmac_f64_e32 v[48:49], v[70:71], v[58:59]
	v_add_f64 v[58:59], v[82:83], v[48:49]
	v_add_f64 v[112:113], v[16:17], -v[58:59]
	v_add_f64 v[82:83], v[58:59], -v[82:83]
	;; [unrolled: 1-line block ×5, first 2 shown]
	v_add_f64 v[16:17], v[48:49], v[16:17]
	v_add_f64 v[16:17], v[112:113], v[16:17]
	v_mul_f64 v[16:17], v[50:51], v[16:17]
	v_add_f64 v[48:49], v[70:71], v[16:17]
	v_add_f64 v[50:51], v[48:49], -v[70:71]
	v_add_f64 v[16:17], v[16:17], -v[50:51]
	v_mul_f64 v[50:51], v[48:49], v[48:49]
	v_fmac_f64_e32 v[34:35], s[40:41], v[50:51]
	v_fma_f64 v[34:35], v[50:51], v[34:35], s[42:43]
	v_fma_f64 v[34:35], v[50:51], v[34:35], s[44:45]
	;; [unrolled: 1-line block ×5, first 2 shown]
	v_mul_f64 v[50:51], v[48:49], v[50:51]
	v_mul_f64 v[34:35], v[50:51], v[34:35]
	v_ldexp_f64 v[48:49], v[48:49], 1
	v_add_f64 v[50:51], v[48:49], v[34:35]
	v_add_f64 v[48:49], v[50:51], -v[48:49]
	v_add_f64 v[34:35], v[34:35], -v[48:49]
	v_ldexp_f64 v[16:17], v[16:17], 1
	v_add_f64 v[16:17], v[16:17], v[34:35]
	v_add_f64 v[34:35], v[50:51], v[16:17]
	v_add_f64 v[48:49], v[34:35], -v[50:51]
	v_add_f64 v[16:17], v[16:17], -v[48:49]
	v_cvt_f64_i32_e32 v[48:49], v1
	v_mul_f64 v[50:51], v[48:49], s[52:53]
	v_fma_f64 v[58:59], v[48:49], s[52:53], -v[50:51]
	v_fmac_f64_e32 v[58:59], s[54:55], v[48:49]
	v_add_f64 v[48:49], v[50:51], v[58:59]
	v_add_f64 v[50:51], v[48:49], -v[50:51]
	v_add_f64 v[50:51], v[58:59], -v[50:51]
	v_add_f64 v[58:59], v[48:49], v[34:35]
	v_add_f64 v[70:71], v[58:59], -v[48:49]
	v_add_f64 v[82:83], v[58:59], -v[70:71]
	;; [unrolled: 1-line block ×4, first 2 shown]
	v_add_f64 v[34:35], v[34:35], v[48:49]
	v_add_f64 v[48:49], v[50:51], v[16:17]
	v_add_f64 v[70:71], v[48:49], -v[50:51]
	v_add_f64 v[82:83], v[48:49], -v[70:71]
	v_add_f64 v[34:35], v[48:49], v[34:35]
	v_add_f64 v[50:51], v[50:51], -v[82:83]
	v_add_f64 v[16:17], v[16:17], -v[70:71]
	v_add_f64 v[48:49], v[58:59], v[34:35]
	v_add_f64 v[16:17], v[16:17], v[50:51]
	v_add_f64 v[50:51], v[48:49], -v[58:59]
	v_add_f64 v[34:35], v[34:35], -v[50:51]
	v_add_f64 v[16:17], v[16:17], v[34:35]
	v_add_f64 v[16:17], v[48:49], v[16:17]
	v_cmp_class_f64_e64 vcc, v[10:11], s33
	v_cndmask_b32_e32 v1, v16, v10, vcc
	v_cndmask_b32_e32 v16, v17, v11, vcc
	v_cmp_ngt_f64_e32 vcc, 0, v[10:11]
	v_cndmask_b32_e32 v9, v9, v16, vcc
	v_cmp_nge_f64_e32 vcc, 0, v[10:11]
	v_cmp_neq_f64_e64 s[2:3], 0, v[10:11]
	v_cndmask_b32_e64 v9, v8, v9, s[2:3]
	v_cndmask_b32_e32 v8, 0, v1, vcc
	v_mul_f64 v[122:123], v[8:9], v[28:29]
	v_div_scale_f64 v[8:9], s[2:3], v[20:21], v[20:21], v[122:123]
	v_rcp_f64_e32 v[10:11], v[8:9]
	s_mov_b32 s2, 0xeb851eb8
	s_mov_b32 s3, 0x3faeb851
	;; [unrolled: 1-line block ×3, first 2 shown]
	v_fma_f64 v[16:17], -v[8:9], v[10:11], 1.0
	v_fmac_f64_e32 v[10:11], v[10:11], v[16:17]
	v_fma_f64 v[16:17], -v[8:9], v[10:11], 1.0
	v_fmac_f64_e32 v[10:11], v[10:11], v[16:17]
	v_div_scale_f64 v[16:17], vcc, v[122:123], v[20:21], v[122:123]
	v_mul_f64 v[34:35], v[16:17], v[10:11]
	v_fma_f64 v[8:9], -v[8:9], v[34:35], v[16:17]
	s_mov_b32 s39, 0x3fb99999
	s_nop 0
	v_div_fmas_f64 v[124:125], v[8:9], v[10:11], v[34:35]
	v_mul_f64 v[8:9], v[6:7], s[2:3]
	v_fma_f64 v[8:9], v[4:5], s[2:3], -v[8:9]
	v_mul_f64 v[10:11], v[8:9], s[4:5]
	v_rndne_f64_e32 v[10:11], v[10:11]
	v_fma_f64 v[16:17], s[6:7], v[10:11], v[8:9]
	v_fmac_f64_e32 v[16:17], s[8:9], v[10:11]
	v_fma_f64 v[34:35], s[14:15], v[16:17], v[26:27]
	v_fma_f64 v[34:35], v[16:17], v[34:35], s[16:17]
	;; [unrolled: 1-line block ×9, first 2 shown]
	v_fma_f64 v[34:35], v[16:17], v[34:35], 1.0
	v_fma_f64 v[16:17], v[16:17], v[34:35], 1.0
	v_cvt_i32_f64_e32 v1, v[10:11]
	v_ldexp_f64 v[10:11], v[16:17], v1
	v_cmp_nlt_f64_e32 vcc, s[34:35], v[8:9]
	v_cndmask_b32_e32 v1, v33, v11, vcc
	v_cmp_ngt_f64_e64 s[2:3], s[36:37], v[8:9]
	v_cndmask_b32_e64 v9, 0, v1, s[2:3]
	s_and_b64 vcc, s[2:3], vcc
	s_mov_b32 s2, 0x3b43bc8b
	v_cndmask_b32_e32 v8, 0, v10, vcc
	s_mov_b32 s3, 0x3ed9c54c
	v_fma_f64 v[58:59], v[8:9], s[2:3], 1.0
	v_div_scale_f64 v[10:11], s[2:3], v[58:59], v[58:59], s[38:39]
	v_rcp_f64_e32 v[16:17], v[10:11]
	v_fma_f64 v[34:35], -v[10:11], v[16:17], 1.0
	v_fmac_f64_e32 v[16:17], v[16:17], v[34:35]
	v_fma_f64 v[34:35], -v[10:11], v[16:17], 1.0
	v_fmac_f64_e32 v[16:17], v[16:17], v[34:35]
	v_div_scale_f64 v[34:35], vcc, s[38:39], v[58:59], s[38:39]
	v_mul_f64 v[48:49], v[34:35], v[16:17]
	v_fma_f64 v[10:11], -v[10:11], v[48:49], v[34:35]
	s_nop 1
	v_div_fmas_f64 v[48:49], v[10:11], v[16:17], v[48:49]
	v_mul_f64 v[10:11], v[6:7], s[38:39]
	v_fma_f64 v[10:11], v[4:5], s[38:39], -v[10:11]
	v_mul_f64 v[16:17], v[10:11], s[4:5]
	v_rndne_f64_e32 v[16:17], v[16:17]
	v_fma_f64 v[34:35], s[6:7], v[16:17], v[10:11]
	v_fmac_f64_e32 v[34:35], s[8:9], v[16:17]
	v_fma_f64 v[50:51], s[14:15], v[34:35], v[26:27]
	v_fma_f64 v[50:51], v[34:35], v[50:51], s[16:17]
	;; [unrolled: 1-line block ×9, first 2 shown]
	v_fma_f64 v[50:51], v[34:35], v[50:51], 1.0
	v_fma_f64 v[34:35], v[34:35], v[50:51], 1.0
	v_cvt_i32_f64_e32 v1, v[16:17]
	v_ldexp_f64 v[16:17], v[34:35], v1
	v_cmp_nlt_f64_e32 vcc, s[34:35], v[10:11]
	v_cndmask_b32_e32 v1, v33, v17, vcc
	v_cmp_ngt_f64_e64 s[2:3], s[36:37], v[10:11]
	v_cndmask_b32_e64 v35, 0, v1, s[2:3]
	s_and_b64 vcc, s[2:3], vcc
	s_mov_b32 s2, 0xeb1c432d
	s_mov_b32 s3, 0x3f2a36e2
	v_mul_f64 v[10:11], v[6:7], s[2:3]
	v_fma_f64 v[10:11], v[4:5], s[2:3], -v[10:11]
	v_cndmask_b32_e32 v34, 0, v16, vcc
	v_mul_f64 v[16:17], v[10:11], s[4:5]
	v_rndne_f64_e32 v[16:17], v[16:17]
	v_fma_f64 v[50:51], s[6:7], v[16:17], v[10:11]
	v_fmac_f64_e32 v[50:51], s[8:9], v[16:17]
	v_fma_f64 v[70:71], s[14:15], v[50:51], v[26:27]
	v_fma_f64 v[70:71], v[50:51], v[70:71], s[16:17]
	;; [unrolled: 1-line block ×9, first 2 shown]
	v_fma_f64 v[70:71], v[50:51], v[70:71], 1.0
	v_cmp_nlt_f64_e32 vcc, s[34:35], v[10:11]
	v_cmp_ngt_f64_e64 s[2:3], s[36:37], v[10:11]
	v_mul_f64 v[10:11], v[4:5], 0.5
	v_fma_f64 v[50:51], v[50:51], v[70:71], 1.0
	v_cvt_i32_f64_e32 v1, v[16:17]
	v_fma_f64 v[6:7], v[6:7], 0.5, -v[10:11]
	v_ldexp_f64 v[16:17], v[50:51], v1
	v_mul_f64 v[10:11], v[6:7], s[4:5]
	v_cndmask_b32_e32 v1, v33, v17, vcc
	s_and_b64 vcc, s[2:3], vcc
	v_rndne_f64_e32 v[10:11], v[10:11]
	v_cndmask_b32_e32 v112, 0, v16, vcc
	v_fma_f64 v[16:17], s[6:7], v[10:11], v[6:7]
	v_fmac_f64_e32 v[16:17], s[8:9], v[10:11]
	v_fmac_f64_e32 v[26:27], s[14:15], v[16:17]
	v_fma_f64 v[26:27], v[16:17], v[26:27], s[16:17]
	v_fma_f64 v[26:27], v[16:17], v[26:27], s[18:19]
	;; [unrolled: 1-line block ×8, first 2 shown]
	v_fma_f64 v[26:27], v[16:17], v[26:27], 1.0
	v_cndmask_b32_e64 v113, 0, v1, s[2:3]
	v_fma_f64 v[16:17], v[16:17], v[26:27], 1.0
	v_cvt_i32_f64_e32 v1, v[10:11]
	v_ldexp_f64 v[10:11], v[16:17], v1
	v_cmp_nlt_f64_e32 vcc, s[34:35], v[6:7]
	v_cndmask_b32_e32 v1, v33, v11, vcc
	v_cmp_ngt_f64_e64 s[2:3], s[36:37], v[6:7]
	v_cndmask_b32_e64 v51, 0, v1, s[2:3]
	s_and_b64 vcc, s[2:3], vcc
	s_mov_b32 s2, 0xf5e201d1
	s_mov_b32 s3, 0x40087c1d
	;; [unrolled: 1-line block ×3, first 2 shown]
	v_cndmask_b32_e32 v50, 0, v10, vcc
	s_mov_b32 s5, 0x3fd78b56
	v_mul_f64 v[70:71], v[112:113], s[2:3]
	v_fmac_f64_e32 v[70:71], s[4:5], v[34:35]
	v_add_f64 v[6:7], v[50:51], 1.0
	v_div_scale_f64 v[10:11], s[2:3], v[6:7], v[6:7], v[70:71]
	v_rcp_f64_e32 v[16:17], v[10:11]
	s_mov_b32 s8, 0x54aa4deb
	s_mov_b32 s9, 0x4025dfe9
	v_fma_f64 v[26:27], -v[10:11], v[16:17], 1.0
	v_fmac_f64_e32 v[16:17], v[16:17], v[26:27]
	v_fma_f64 v[26:27], -v[10:11], v[16:17], 1.0
	v_fmac_f64_e32 v[16:17], v[16:17], v[26:27]
	v_div_scale_f64 v[26:27], vcc, v[70:71], v[6:7], v[70:71]
	v_mul_f64 v[82:83], v[26:27], v[16:17]
	v_fma_f64 v[10:11], -v[10:11], v[82:83], v[26:27]
	v_div_fixup_f64 v[26:27], v[48:49], v[58:59], s[38:39]
	s_nop 0
	v_div_fmas_f64 v[10:11], v[10:11], v[16:17], v[82:83]
	v_div_fixup_f64 v[10:11], v[10:11], v[6:7], v[70:71]
	v_add_f64 v[82:83], v[26:27], v[10:11]
	v_div_scale_f64 v[10:11], s[2:3], v[82:83], v[82:83], v[26:27]
	v_rcp_f64_e32 v[16:17], v[10:11]
	s_mov_b32 s2, 0
	s_brev_b32 s3, 8
	v_fma_f64 v[48:49], -v[10:11], v[16:17], 1.0
	v_fmac_f64_e32 v[16:17], v[16:17], v[48:49]
	v_fma_f64 v[48:49], -v[10:11], v[16:17], 1.0
	v_fmac_f64_e32 v[16:17], v[16:17], v[48:49]
	v_div_scale_f64 v[48:49], vcc, v[26:27], v[82:83], v[26:27]
	v_mul_f64 v[72:73], v[48:49], v[16:17]
	v_fma_f64 v[10:11], -v[10:11], v[72:73], v[48:49]
	s_nop 1
	v_div_fmas_f64 v[48:49], v[10:11], v[16:17], v[72:73]
	v_cmp_gt_f64_e32 vcc, s[2:3], v[80:81]
	v_cndmask_b32_e64 v1, 0, 1, vcc
	v_lshlrev_b32_e32 v1, 8, v1
	v_ldexp_f64 v[10:11], v[80:81], v1
	v_rsq_f64_e32 v[16:17], v[10:11]
	v_mov_b32_e32 v1, 0xffffff80
	v_cndmask_b32_e32 v1, 0, v1, vcc
	v_mul_f64 v[72:73], v[10:11], v[16:17]
	v_mul_f64 v[16:17], v[16:17], 0.5
	v_fma_f64 v[80:81], -v[16:17], v[72:73], 0.5
	v_fmac_f64_e32 v[72:73], v[72:73], v[80:81]
	v_fmac_f64_e32 v[16:17], v[16:17], v[80:81]
	v_fma_f64 v[80:81], -v[72:73], v[72:73], v[10:11]
	v_fmac_f64_e32 v[72:73], v[80:81], v[16:17]
	v_fma_f64 v[80:81], -v[72:73], v[72:73], v[10:11]
	v_fmac_f64_e32 v[72:73], v[80:81], v[16:17]
	v_ldexp_f64 v[16:17], v[72:73], v1
	v_mov_b32_e32 v1, 0x260
	v_cmp_class_f64_e32 vcc, v[10:11], v1
	v_cndmask_b32_e32 v81, v17, v11, vcc
	v_cndmask_b32_e32 v80, v16, v10, vcc
	buffer_load_dword v16, off, s[56:59], 0 offset:136 ; 4-byte Folded Reload
	buffer_load_dword v17, off, s[56:59], 0 offset:140 ; 4-byte Folded Reload
	v_add_f64 v[10:11], v[22:23], v[118:119]
	s_waitcnt vmcnt(0)
	global_store_dwordx2 v[16:17], v[10:11], off
	v_div_scale_f64 v[10:11], s[2:3], v[78:79], v[78:79], s[10:11]
	v_rcp_f64_e32 v[16:17], v[10:11]
	s_mov_b32 s2, 0x85944719
	s_mov_b32 s3, 0x3e63cab9
	v_mul_f64 v[8:9], v[8:9], s[2:3]
	v_fma_f64 v[72:73], -v[10:11], v[16:17], 1.0
	v_fmac_f64_e32 v[16:17], v[16:17], v[72:73]
	v_fma_f64 v[72:73], -v[10:11], v[16:17], 1.0
	v_fmac_f64_e32 v[16:17], v[16:17], v[72:73]
	v_div_scale_f64 v[72:73], vcc, s[10:11], v[78:79], s[10:11]
	v_mul_f64 v[118:119], v[72:73], v[16:17]
	v_fma_f64 v[10:11], -v[10:11], v[118:119], v[72:73]
	s_nop 1
	v_div_fmas_f64 v[10:11], v[10:11], v[16:17], v[118:119]
	buffer_load_dword v16, off, s[56:59], 0 offset:200 ; 4-byte Folded Reload
	buffer_load_dword v17, off, s[56:59], 0 offset:204 ; 4-byte Folded Reload
	;; [unrolled: 1-line block ×4, first 2 shown]
	v_div_fixup_f64 v[10:11], v[10:11], v[78:79], s[10:11]
	v_floor_f64_e32 v[10:11], v[10:11]
	v_fma_f64 v[10:11], -v[78:79], v[10:11], s[10:11]
	buffer_load_dword v118, off, s[56:59], 0 offset:104 ; 4-byte Folded Reload
	buffer_load_dword v119, off, s[56:59], 0 offset:108 ; 4-byte Folded Reload
	s_waitcnt vmcnt(2)
	v_add_f64 v[16:17], v[16:17], v[72:73]
	v_cmp_nle_f64_e64 s[4:5], v[10:11], v[16:17]
	v_cmp_nge_f64_e64 s[6:7], v[10:11], v[72:73]
	v_mul_f64 v[10:11], v[58:59], v[58:59]
	v_div_scale_f64 v[16:17], s[2:3], v[10:11], v[10:11], v[8:9]
	v_rcp_f64_e32 v[58:59], v[16:17]
	s_or_b64 s[4:5], s[4:5], s[6:7]
	v_fma_f64 v[72:73], -v[16:17], v[58:59], 1.0
	v_fmac_f64_e32 v[58:59], v[58:59], v[72:73]
	v_fma_f64 v[72:73], -v[16:17], v[58:59], 1.0
	v_fmac_f64_e32 v[58:59], v[58:59], v[72:73]
	v_div_scale_f64 v[72:73], vcc, v[8:9], v[10:11], v[8:9]
	v_mul_f64 v[78:79], v[72:73], v[58:59]
	v_fma_f64 v[16:17], -v[16:17], v[78:79], v[72:73]
	s_nop 1
	v_div_fmas_f64 v[16:17], v[16:17], v[58:59], v[78:79]
	v_div_fixup_f64 v[8:9], v[16:17], v[10:11], v[8:9]
	v_mul_f64 v[10:11], v[66:67], v[100:101]
	v_mul_f64 v[10:11], v[60:61], v[10:11]
	;; [unrolled: 1-line block ×4, first 2 shown]
	v_div_scale_f64 v[16:17], s[2:3], v[98:99], v[98:99], v[10:11]
	v_rcp_f64_e32 v[58:59], v[16:17]
	v_fma_f64 v[72:73], -v[16:17], v[58:59], 1.0
	v_fmac_f64_e32 v[58:59], v[58:59], v[72:73]
	v_fma_f64 v[72:73], -v[16:17], v[58:59], 1.0
	v_fmac_f64_e32 v[58:59], v[58:59], v[72:73]
	v_div_scale_f64 v[72:73], vcc, v[10:11], v[98:99], v[10:11]
	v_mul_f64 v[78:79], v[72:73], v[58:59]
	v_fma_f64 v[16:17], -v[16:17], v[78:79], v[72:73]
	s_nop 1
	v_div_fmas_f64 v[16:17], v[16:17], v[58:59], v[78:79]
	v_div_fixup_f64 v[78:79], v[16:17], v[98:99], v[10:11]
	v_mul_f64 v[10:11], v[20:21], v[44:45]
	buffer_load_dword v44, off, s[56:59], 0 offset:32 ; 4-byte Folded Reload
	buffer_load_dword v45, off, s[56:59], 0 offset:36 ; 4-byte Folded Reload
	;; [unrolled: 1-line block ×4, first 2 shown]
	s_waitcnt vmcnt(4)
	v_ldexp_f64 v[16:17], v[118:119], 3
	v_mul_f64 v[16:17], v[16:17], v[10:11]
	v_mul_f64 v[16:17], v[16:17], v[96:97]
	;; [unrolled: 1-line block ×8, first 2 shown]
	s_waitcnt vmcnt(2)
	v_mul_f64 v[44:45], v[44:45], v[44:45]
	s_waitcnt vmcnt(0)
	v_mul_f64 v[58:59], v[58:59], v[58:59]
	v_mul_f64 v[44:45], v[44:45], v[58:59]
	;; [unrolled: 1-line block ×4, first 2 shown]
	v_div_scale_f64 v[72:73], s[2:3], v[58:59], v[58:59], v[16:17]
	v_rcp_f64_e32 v[96:97], v[72:73]
	v_fma_f64 v[98:99], -v[72:73], v[96:97], 1.0
	v_fmac_f64_e32 v[96:97], v[96:97], v[98:99]
	v_fma_f64 v[98:99], -v[72:73], v[96:97], 1.0
	v_fmac_f64_e32 v[96:97], v[96:97], v[98:99]
	v_div_scale_f64 v[98:99], vcc, v[16:17], v[58:59], v[16:17]
	v_mul_f64 v[100:101], v[98:99], v[96:97]
	v_fma_f64 v[72:73], -v[72:73], v[100:101], v[98:99]
	s_nop 1
	v_div_fmas_f64 v[72:73], v[72:73], v[96:97], v[100:101]
	v_div_fixup_f64 v[72:73], v[72:73], v[58:59], v[16:17]
	v_add_f64 v[16:17], v[118:119], v[118:119]
	v_mul_f64 v[10:11], v[16:17], v[10:11]
	v_mul_f64 v[10:11], v[68:69], v[10:11]
	;; [unrolled: 1-line block ×9, first 2 shown]
	v_div_scale_f64 v[40:41], s[2:3], v[16:17], v[16:17], v[10:11]
	v_rcp_f64_e32 v[44:45], v[40:41]
	v_fma_f64 v[58:59], -v[40:41], v[44:45], 1.0
	v_fmac_f64_e32 v[44:45], v[44:45], v[58:59]
	v_fma_f64 v[58:59], -v[40:41], v[44:45], 1.0
	v_fmac_f64_e32 v[44:45], v[44:45], v[58:59]
	v_div_scale_f64 v[58:59], vcc, v[10:11], v[16:17], v[10:11]
	v_mul_f64 v[60:61], v[58:59], v[44:45]
	v_fma_f64 v[40:41], -v[40:41], v[60:61], v[58:59]
	s_nop 1
	v_div_fmas_f64 v[40:41], v[40:41], v[44:45], v[60:61]
	v_div_fixup_f64 v[64:65], v[40:41], v[16:17], v[10:11]
	v_div_scale_f64 v[10:11], s[2:3], v[94:95], v[94:95], v[12:13]
	v_rcp_f64_e32 v[40:41], v[10:11]
	v_fma_f64 v[16:17], -v[10:11], v[40:41], 1.0
	v_fmac_f64_e32 v[40:41], v[40:41], v[16:17]
	v_fma_f64 v[16:17], -v[10:11], v[40:41], 1.0
	v_fmac_f64_e32 v[40:41], v[40:41], v[16:17]
	v_div_scale_f64 v[16:17], s[2:3], v[12:13], v[94:95], v[12:13]
	v_mul_f64 v[44:45], v[16:17], v[40:41]
	v_fma_f64 v[58:59], -v[10:11], v[44:45], v[16:17]
	v_mul_f64 v[10:11], v[12:13], s[8:9]
	v_mul_f64 v[10:11], v[10:11], v[114:115]
	;; [unrolled: 1-line block ×4, first 2 shown]
	v_div_scale_f64 v[60:61], s[8:9], v[16:17], v[16:17], v[10:11]
	v_rcp_f64_e32 v[62:63], v[60:61]
	s_mov_b64 vcc, s[2:3]
	v_div_fmas_f64 v[74:75], v[58:59], v[40:41], v[44:45]
	v_fma_f64 v[66:67], -v[60:61], v[62:63], 1.0
	v_fmac_f64_e32 v[62:63], v[62:63], v[66:67]
	v_fma_f64 v[66:67], -v[60:61], v[62:63], 1.0
	v_fmac_f64_e32 v[62:63], v[62:63], v[66:67]
	v_div_scale_f64 v[66:67], s[8:9], v[10:11], v[16:17], v[10:11]
	v_mul_f64 v[68:69], v[66:67], v[62:63]
	v_fma_f64 v[60:61], -v[60:61], v[68:69], v[66:67]
	s_mov_b64 vcc, s[8:9]
	v_div_fmas_f64 v[60:61], v[60:61], v[62:63], v[68:69]
	v_mul_f64 v[66:67], v[82:83], v[82:83]
	v_div_fixup_f64 v[92:93], v[60:61], v[16:17], v[10:11]
	v_div_scale_f64 v[10:11], s[8:9], v[66:67], v[66:67], -v[26:27]
	v_rcp_f64_e32 v[16:17], v[10:11]
	v_fma_f64 v[60:61], -v[10:11], v[16:17], 1.0
	v_fmac_f64_e32 v[16:17], v[16:17], v[60:61]
	v_fma_f64 v[60:61], -v[10:11], v[16:17], 1.0
	v_fmac_f64_e32 v[16:17], v[16:17], v[60:61]
	v_div_scale_f64 v[60:61], vcc, -v[26:27], v[66:67], -v[26:27]
	v_mul_f64 v[62:63], v[60:61], v[16:17]
	v_fma_f64 v[10:11], -v[10:11], v[62:63], v[60:61]
	s_nop 1
	v_div_fmas_f64 v[68:69], v[10:11], v[16:17], v[62:63]
	v_div_scale_f64 v[10:11], s[8:9], v[82:83], v[82:83], 1.0
	v_rcp_f64_e32 v[16:17], v[10:11]
	v_fma_f64 v[60:61], -v[10:11], v[16:17], 1.0
	v_fmac_f64_e32 v[16:17], v[16:17], v[60:61]
	v_fma_f64 v[60:61], -v[10:11], v[16:17], 1.0
	v_fmac_f64_e32 v[16:17], v[16:17], v[60:61]
	v_div_scale_f64 v[60:61], vcc, 1.0, v[82:83], 1.0
	v_mul_f64 v[62:63], v[60:61], v[16:17]
	v_fma_f64 v[10:11], -v[10:11], v[62:63], v[60:61]
	s_nop 1
	v_div_fmas_f64 v[118:119], v[10:11], v[16:17], v[62:63]
	v_div_scale_f64 v[10:11], s[8:9], v[66:67], v[66:67], v[26:27]
	v_rcp_f64_e32 v[16:17], v[10:11]
	s_mov_b32 s8, 0x91bd8c28
	s_mov_b32 s9, 0x3fa2d5de
	v_fma_f64 v[60:61], -v[10:11], v[16:17], 1.0
	v_fmac_f64_e32 v[16:17], v[16:17], v[60:61]
	v_fma_f64 v[60:61], -v[10:11], v[16:17], 1.0
	v_fmac_f64_e32 v[16:17], v[16:17], v[60:61]
	v_div_scale_f64 v[60:61], vcc, v[26:27], v[66:67], v[26:27]
	v_mul_f64 v[62:63], v[60:61], v[16:17]
	v_fma_f64 v[10:11], -v[10:11], v[62:63], v[60:61]
	v_mul_f64 v[60:61], v[34:35], s[8:9]
	s_mov_b32 s8, 0x6acf4366
	s_mov_b32 s9, 0x3f440ed7
	v_fma_f64 v[96:97], s[8:9], v[112:113], v[60:61]
	v_div_fmas_f64 v[126:127], v[10:11], v[16:17], v[62:63]
	v_div_scale_f64 v[10:11], s[8:9], v[6:7], v[6:7], v[96:97]
	v_rcp_f64_e32 v[16:17], v[10:11]
	v_fma_f64 v[34:35], -v[10:11], v[16:17], 1.0
	v_fmac_f64_e32 v[16:17], v[16:17], v[34:35]
	v_fma_f64 v[34:35], -v[10:11], v[16:17], 1.0
	v_fmac_f64_e32 v[16:17], v[16:17], v[34:35]
	v_div_scale_f64 v[34:35], vcc, v[96:97], v[6:7], v[96:97]
	v_mul_f64 v[62:63], v[34:35], v[16:17]
	v_fma_f64 v[10:11], -v[10:11], v[62:63], v[34:35]
	s_nop 1
	v_div_fmas_f64 v[100:101], v[10:11], v[16:17], v[62:63]
	v_mul_f64 v[10:11], v[70:71], 0.5
	v_mul_f64 v[10:11], v[50:51], v[10:11]
	v_mul_f64 v[16:17], v[6:7], v[6:7]
	v_div_scale_f64 v[34:35], s[8:9], v[16:17], v[16:17], v[10:11]
	v_rcp_f64_e32 v[50:51], v[34:35]
	s_mov_b32 s8, 0x7318fc50
	s_mov_b32 s9, 0x3fa212d7
	v_fma_f64 v[62:63], -v[34:35], v[50:51], 1.0
	v_fmac_f64_e32 v[50:51], v[50:51], v[62:63]
	v_fma_f64 v[62:63], -v[34:35], v[50:51], 1.0
	v_fmac_f64_e32 v[50:51], v[50:51], v[62:63]
	v_div_scale_f64 v[62:63], vcc, v[10:11], v[16:17], v[10:11]
	v_mul_f64 v[70:71], v[62:63], v[50:51]
	v_fma_f64 v[34:35], -v[34:35], v[70:71], v[62:63]
	s_nop 1
	v_div_fmas_f64 v[34:35], v[34:35], v[50:51], v[70:71]
	v_div_fixup_f64 v[62:63], v[34:35], v[16:17], v[10:11]
	v_mul_f64 v[10:11], v[20:21], s[8:9]
	v_mul_f64 v[10:11], v[10:11], v[106:107]
	v_div_scale_f64 v[16:17], s[8:9], v[28:29], v[28:29], v[10:11]
	v_rcp_f64_e32 v[34:35], v[16:17]
	s_mov_b32 s8, 0xb6ae7d56
	s_mov_b32 s9, 0x3f897f62
	v_fma_f64 v[50:51], -v[16:17], v[34:35], 1.0
	v_fmac_f64_e32 v[34:35], v[34:35], v[50:51]
	v_fma_f64 v[50:51], -v[16:17], v[34:35], 1.0
	v_fmac_f64_e32 v[34:35], v[34:35], v[50:51]
	v_div_scale_f64 v[50:51], vcc, v[10:11], v[28:29], v[10:11]
	v_mul_f64 v[70:71], v[50:51], v[34:35]
	v_fma_f64 v[16:17], -v[16:17], v[70:71], v[50:51]
	s_nop 1
	v_div_fmas_f64 v[16:17], v[16:17], v[34:35], v[70:71]
	v_mul_f64 v[34:35], v[20:21], s[8:9]
	v_mul_f64 v[34:35], v[34:35], v[108:109]
	v_div_scale_f64 v[50:51], s[8:9], v[28:29], v[28:29], v[34:35]
	v_rcp_f64_e32 v[70:71], v[50:51]
	v_div_fixup_f64 v[10:11], v[16:17], v[28:29], v[10:11]
	v_fma_f64 v[98:99], -v[50:51], v[70:71], 1.0
	v_fmac_f64_e32 v[70:71], v[70:71], v[98:99]
	v_fma_f64 v[98:99], -v[50:51], v[70:71], 1.0
	v_fmac_f64_e32 v[70:71], v[70:71], v[98:99]
	v_div_scale_f64 v[98:99], vcc, v[34:35], v[28:29], v[34:35]
	v_mul_f64 v[106:107], v[98:99], v[70:71]
	v_fma_f64 v[50:51], -v[50:51], v[106:107], v[98:99]
	s_nop 1
	v_div_fmas_f64 v[50:51], v[50:51], v[70:71], v[106:107]
	v_div_fixup_f64 v[16:17], v[50:51], v[28:29], v[34:35]
	v_add_f64 v[10:11], v[10:11], v[16:17]
	v_mul_f64 v[10:11], v[86:87], v[10:11]
	v_mul_f64 v[86:87], v[22:23], v[10:11]
	;; [unrolled: 1-line block ×4, first 2 shown]
	v_div_scale_f64 v[10:11], s[8:9], v[98:99], v[98:99], v[86:87]
	v_rcp_f64_e32 v[16:17], v[10:11]
	v_fma_f64 v[22:23], -v[10:11], v[16:17], 1.0
	v_fmac_f64_e32 v[16:17], v[16:17], v[22:23]
	v_fma_f64 v[22:23], -v[10:11], v[16:17], 1.0
	v_fmac_f64_e32 v[16:17], v[16:17], v[22:23]
	v_div_scale_f64 v[22:23], vcc, v[86:87], v[98:99], v[86:87]
	v_mul_f64 v[34:35], v[22:23], v[16:17]
	v_fma_f64 v[10:11], -v[10:11], v[34:35], v[22:23]
	s_nop 1
	v_div_fmas_f64 v[102:103], v[10:11], v[16:17], v[34:35]
	buffer_load_dword v16, off, s[56:59], 0 offset:96 ; 4-byte Folded Reload
	buffer_load_dword v17, off, s[56:59], 0 offset:100 ; 4-byte Folded Reload
	v_mul_f64 v[10:11], v[54:55], v[20:21]
	s_waitcnt vmcnt(0)
	v_mul_f64 v[10:11], v[16:17], v[10:11]
	buffer_load_dword v16, off, s[56:59], 0 offset:368 ; 4-byte Folded Reload
	buffer_load_dword v17, off, s[56:59], 0 offset:372 ; 4-byte Folded Reload
	s_waitcnt vmcnt(0)
	v_mul_f64 v[10:11], v[16:17], v[10:11]
	v_mul_f64 v[104:105], v[10:11], v[38:39]
	v_div_scale_f64 v[10:11], s[8:9], v[28:29], v[28:29], v[104:105]
	v_rcp_f64_e32 v[16:17], v[10:11]
	s_mov_b32 s8, 0xf62f0be
	s_mov_b32 s9, 0x3fdb8a8d
	v_fma_f64 v[22:23], -v[10:11], v[16:17], 1.0
	v_fmac_f64_e32 v[16:17], v[16:17], v[22:23]
	v_fma_f64 v[22:23], -v[10:11], v[16:17], 1.0
	v_fmac_f64_e32 v[16:17], v[16:17], v[22:23]
	v_div_scale_f64 v[22:23], vcc, v[104:105], v[28:29], v[104:105]
	v_mul_f64 v[34:35], v[22:23], v[16:17]
	v_fma_f64 v[10:11], -v[10:11], v[34:35], v[22:23]
	v_div_fixup_f64 v[22:23], v[68:69], v[66:67], -v[26:27]
	s_nop 0
	v_div_fmas_f64 v[108:109], v[10:11], v[16:17], v[34:35]
	v_div_fixup_f64 v[16:17], v[126:127], v[66:67], v[26:27]
	v_div_fixup_f64 v[66:67], v[48:49], v[82:83], v[26:27]
	buffer_load_dword v26, off, s[56:59], 0 offset:168 ; 4-byte Folded Reload
	buffer_load_dword v27, off, s[56:59], 0 offset:172 ; 4-byte Folded Reload
	;; [unrolled: 1-line block ×4, first 2 shown]
	v_div_fixup_f64 v[34:35], v[120:121], v[94:95], v[116:117]
	v_div_fixup_f64 v[10:11], v[124:125], v[20:21], v[122:123]
	v_add_f64 v[68:69], v[4:5], -v[10:11]
	s_waitcnt vmcnt(2)
	v_mul_f64 v[26:27], v[26:27], s[8:9]
	s_waitcnt vmcnt(0)
	v_mul_f64 v[38:39], v[38:39], s[8:9]
	v_mul_f64 v[106:107], v[38:39], v[80:81]
	buffer_load_dword v38, off, s[56:59], 0 offset:184 ; 4-byte Folded Reload
	buffer_load_dword v39, off, s[56:59], 0 offset:188 ; 4-byte Folded Reload
	v_mul_f64 v[26:27], v[26:27], v[80:81]
	v_mul_f64 v[10:11], v[106:107], v[114:115]
	s_waitcnt vmcnt(0)
	v_xor_b32_e32 v1, 0x80000000, v39
	v_cndmask_b32_e64 v54, v38, 0, s[4:5]
	buffer_load_dword v38, off, s[56:59], 0 offset:16 ; 4-byte Folded Reload
	buffer_load_dword v39, off, s[56:59], 0 offset:20 ; 4-byte Folded Reload
	;; [unrolled: 1-line block ×10, first 2 shown]
	v_cndmask_b32_e64 v55, v1, 0, s[4:5]
	v_cndmask_b32_e64 v1, v32, 0, s[0:1]
	v_div_fixup_f64 v[32:33], v[102:103], v[98:99], v[86:87]
	s_waitcnt vmcnt(8)
	v_mul_f64 v[80:81], v[38:39], v[38:39]
	v_mul_f64 v[38:39], v[26:27], v[114:115]
	s_waitcnt vmcnt(6)
	v_mul_f64 v[70:71], v[116:117], v[10:11]
	v_fma_f64 v[10:11], -v[38:39], v[66:67], -v[24:25]
	s_waitcnt vmcnt(4)
	v_fma_f64 v[10:11], -v[120:121], v[70:71], v[10:11]
	s_waitcnt vmcnt(2)
	v_mul_f64 v[24:25], v[80:81], v[122:123]
	v_fma_f64 v[10:11], -v[24:25], v[68:69], v[10:11]
	v_add_f64 v[10:11], v[10:11], -v[110:111]
	s_waitcnt vmcnt(0)
	v_add_f64 v[10:11], v[10:11], -v[48:49]
	buffer_load_dword v48, off, s[56:59], 0 offset:352 ; 4-byte Folded Reload
	buffer_load_dword v49, off, s[56:59], 0 offset:356 ; 4-byte Folded Reload
	v_add_f64 v[10:11], v[10:11], -v[46:47]
	v_add_f64 v[10:11], v[10:11], -v[54:55]
	v_mul_f64 v[26:27], v[26:27], v[66:67]
	s_waitcnt vmcnt(0)
	v_add_f64 v[10:11], v[10:11], -v[48:49]
	buffer_load_dword v48, off, s[56:59], 0 offset:408 ; 4-byte Folded Reload
	buffer_load_dword v49, off, s[56:59], 0 offset:412 ; 4-byte Folded Reload
	v_add_f64 v[10:11], v[10:11], -v[90:91]
	buffer_load_dword v50, off, s[56:59], 0 offset:152 ; 4-byte Folded Reload
	buffer_load_dword v51, off, s[56:59], 0 offset:156 ; 4-byte Folded Reload
	s_waitcnt vmcnt(2)
	v_add_f64 v[10:11], v[10:11], -v[48:49]
	v_add_f64 v[48:49], v[78:79], -v[72:73]
	buffer_load_dword v78, off, s[56:59], 0 offset:176 ; 4-byte Folded Reload
	buffer_load_dword v79, off, s[56:59], 0 offset:180 ; 4-byte Folded Reload
	v_add_f64 v[72:73], v[64:65], v[48:49]
	v_div_fixup_f64 v[48:49], v[74:75], v[94:95], v[12:13]
	v_add_f64 v[74:75], v[48:49], v[92:93]
	s_waitcnt vmcnt(2)
	v_mul_f64 v[48:49], v[50:51], v[114:115]
	v_add_f64 v[10:11], v[10:11], -v[34:35]
	s_waitcnt vmcnt(0)
	v_mul_f64 v[64:65], v[78:79], v[48:49]
	v_div_fixup_f64 v[48:49], v[118:119], v[82:83], 1.0
	v_add_f64 v[48:49], v[48:49], -v[16:17]
	buffer_load_dword v16, off, s[56:59], 0 offset:88 ; 4-byte Folded Reload
	buffer_load_dword v17, off, s[56:59], 0 offset:92 ; 4-byte Folded Reload
	;; [unrolled: 1-line block ×4, first 2 shown]
	v_div_fixup_f64 v[82:83], v[100:101], v[6:7], v[96:97]
	buffer_load_dword v100, off, s[56:59], 0 offset:24 ; 4-byte Folded Reload
	buffer_load_dword v101, off, s[56:59], 0 offset:28 ; 4-byte Folded Reload
	;; [unrolled: 1-line block ×4, first 2 shown]
	v_mul_f64 v[50:51], v[78:79], v[50:51]
	s_waitcnt vmcnt(6)
	v_mul_f64 v[16:17], v[16:17], v[20:21]
	v_mul_f64 v[16:17], v[30:31], v[16:17]
	s_waitcnt vmcnt(4)
	v_mul_f64 v[16:17], v[110:111], v[16:17]
	v_mul_f64 v[16:17], v[42:43], v[16:17]
	;; [unrolled: 1-line block ×3, first 2 shown]
	v_div_scale_f64 v[30:31], s[4:5], v[28:29], v[28:29], v[16:17]
	v_rcp_f64_e32 v[78:79], v[30:31]
	v_fma_f64 v[42:43], -v[30:31], v[78:79], 1.0
	v_fmac_f64_e32 v[78:79], v[78:79], v[42:43]
	v_fma_f64 v[42:43], -v[30:31], v[78:79], 1.0
	v_fmac_f64_e32 v[78:79], v[78:79], v[42:43]
	v_div_scale_f64 v[42:43], vcc, v[16:17], v[28:29], v[16:17]
	v_mul_f64 v[90:91], v[42:43], v[78:79]
	v_fma_f64 v[30:31], -v[30:31], v[90:91], v[42:43]
	v_fma_f64 v[42:43], -v[18:19], v[64:65], v[10:11]
	s_nop 0
	v_div_fmas_f64 v[78:79], v[30:31], v[78:79], v[90:91]
	v_div_fixup_f64 v[90:91], v[108:109], v[28:29], v[104:105]
	v_div_fixup_f64 v[16:17], v[78:79], v[28:29], v[16:17]
	v_add_f64 v[16:17], v[90:91], -v[16:17]
	s_waitcnt vmcnt(2)
	v_mul_f64 v[16:17], v[100:101], v[16:17]
	v_div_scale_f64 v[90:91], s[4:5], v[76:77], v[76:77], v[16:17]
	v_rcp_f64_e32 v[92:93], v[90:91]
	v_add_f64 v[10:11], v[82:83], v[62:63]
	v_mul_f64 v[30:31], v[8:9], v[48:49]
	v_fma_f64 v[10:11], v[10:11], v[22:23], -v[30:31]
	v_fma_f64 v[86:87], -v[90:91], v[92:93], 1.0
	v_fmac_f64_e32 v[92:93], v[92:93], v[86:87]
	v_fma_f64 v[86:87], -v[90:91], v[92:93], 1.0
	v_fmac_f64_e32 v[92:93], v[92:93], v[86:87]
	v_div_scale_f64 v[86:87], vcc, v[16:17], v[76:77], v[16:17]
	v_mul_f64 v[96:97], v[86:87], v[92:93]
	v_fma_f64 v[86:87], -v[90:91], v[96:97], v[86:87]
	v_mul_f64 v[90:91], v[100:101], v[20:21]
	s_waitcnt vmcnt(0)
	v_mul_f64 v[90:91], v[98:99], v[90:91]
	buffer_load_dword v98, off, s[56:59], 0 offset:384 ; 4-byte Folded Reload
	buffer_load_dword v99, off, s[56:59], 0 offset:388 ; 4-byte Folded Reload
	v_mul_f64 v[90:91], v[110:111], v[90:91]
	v_div_fmas_f64 v[86:87], v[86:87], v[92:93], v[96:97]
	v_div_fixup_f64 v[16:17], v[86:87], v[76:77], v[16:17]
	v_fma_f64 v[82:83], v[38:39], v[10:11], v[26:27]
	v_mul_f64 v[78:79], v[116:117], v[106:107]
	s_waitcnt vmcnt(0)
	v_mul_f64 v[90:91], v[90:91], v[98:99]
	v_mul_f64 v[52:53], v[52:53], v[90:91]
	buffer_load_dword v90, off, s[56:59], 0 offset:392 ; 4-byte Folded Reload
	buffer_load_dword v91, off, s[56:59], 0 offset:396 ; 4-byte Folded Reload
	s_waitcnt vmcnt(0)
	v_mul_f64 v[90:91], v[90:91], v[90:91]
	v_mul_f64 v[28:29], v[28:29], v[90:91]
	buffer_load_dword v90, off, s[56:59], 0 offset:376 ; 4-byte Folded Reload
	buffer_load_dword v91, off, s[56:59], 0 offset:380 ; 4-byte Folded Reload
	s_waitcnt vmcnt(0)
	v_mul_f64 v[28:29], v[90:91], v[28:29]
	buffer_load_dword v90, off, s[56:59], 0 offset:400 ; 4-byte Folded Reload
	buffer_load_dword v91, off, s[56:59], 0 offset:404 ; 4-byte Folded Reload
	s_waitcnt vmcnt(0)
	v_mul_f64 v[28:29], v[90:91], v[28:29]
	v_div_scale_f64 v[90:91], s[0:1], v[28:29], v[28:29], v[52:53]
	v_rcp_f64_e32 v[98:99], v[90:91]
	s_mov_b32 s0, 0xe2308c3a
	s_mov_b32 s1, 0x3e45798e
	v_fma_f64 v[76:77], -v[90:91], v[98:99], 1.0
	v_fmac_f64_e32 v[98:99], v[98:99], v[76:77]
	v_fma_f64 v[76:77], -v[90:91], v[98:99], 1.0
	v_fmac_f64_e32 v[98:99], v[98:99], v[76:77]
	v_div_scale_f64 v[76:77], vcc, v[52:53], v[28:29], v[52:53]
	v_mul_f64 v[86:87], v[76:77], v[98:99]
	v_fma_f64 v[76:77], -v[90:91], v[86:87], v[76:77]
	s_nop 1
	v_div_fmas_f64 v[76:77], v[76:77], v[98:99], v[86:87]
	v_div_fixup_f64 v[28:29], v[76:77], v[28:29], v[52:53]
	v_add_f64 v[16:17], v[16:17], -v[28:29]
	buffer_load_dword v28, off, s[56:59], 0 offset:8 ; 4-byte Folded Reload
	buffer_load_dword v29, off, s[56:59], 0 offset:12 ; 4-byte Folded Reload
	;; [unrolled: 1-line block ×4, first 2 shown]
	s_waitcnt vmcnt(0)
	v_add_f64 v[28:29], -v[52:53], -v[28:29]
	v_add_f64 v[28:29], v[28:29], -v[82:83]
	v_fma_f64 v[28:29], -v[120:121], v[78:79], v[28:29]
	v_fma_f64 v[28:29], -v[80:81], v[122:123], v[28:29]
	v_add_f64 v[16:17], v[28:29], -v[16:17]
	v_add_f64 v[16:17], v[16:17], -v[32:33]
	v_fma_f64 v[2:3], -v[36:37], v[2:3], v[16:17]
	v_add_f64 v[2:3], v[2:3], -v[74:75]
	v_fma_f64 v[2:3], -v[18:19], v[50:51], v[2:3]
	v_fma_f64 v[2:3], -v[38:39], v[10:11], v[2:3]
	;; [unrolled: 1-line block ×3, first 2 shown]
	v_cmp_ngt_f64_e64 s[0:1], |v[2:3]|, s[0:1]
                                        ; implicit-def: $vgpr28_vgpr29
	s_and_saveexec_b64 s[4:5], s[0:1]
	s_xor_b64 s[0:1], exec, s[4:5]
; %bb.78:
	v_mul_f64 v[28:29], v[42:43], s[12:13]
                                        ; implicit-def: $vgpr2_vgpr3
                                        ; implicit-def: $vgpr42_vgpr43
; %bb.79:
	s_or_saveexec_b64 s[4:5], s[0:1]
	v_mul_f64 v[32:33], v[18:19], v[64:65]
	v_mul_f64 v[36:37], v[24:25], v[68:69]
	;; [unrolled: 1-line block ×5, first 2 shown]
	s_xor_b64 exec, exec, s[4:5]
	s_cbranch_execz .LBB0_81
; %bb.80:
	s_mov_b32 s0, 0x652b82fe
	v_mul_f64 v[10:11], v[2:3], s[12:13]
	s_mov_b32 s1, 0x3ff71547
	v_mul_f64 v[16:17], v[10:11], s[0:1]
	s_mov_b32 s0, 0xfefa39ef
	v_rndne_f64_e32 v[16:17], v[16:17]
	s_mov_b32 s1, 0xbfe62e42
	v_fma_f64 v[28:29], s[0:1], v[16:17], v[10:11]
	s_mov_b32 s0, 0x3b39803f
	s_mov_b32 s1, 0xbc7abc9e
	v_fmac_f64_e32 v[28:29], s[0:1], v[16:17]
	s_mov_b32 s0, 0x6a5dcb37
	v_mov_b32_e32 v66, 0xfca7ab0c
	v_mov_b32_e32 v67, 0x3e928af3
	s_mov_b32 s1, 0x3e5ade15
	v_fmac_f64_e32 v[66:67], s[0:1], v[28:29]
	v_mov_b32_e32 v68, 0x623fde64
	v_mov_b32_e32 v69, 0x3ec71dee
	v_fmac_f64_e32 v[68:69], v[28:29], v[66:67]
	v_mov_b32_e32 v66, 0x7c89e6b0
	v_mov_b32_e32 v67, 0x3efa0199
	;; [unrolled: 3-line block ×8, first 2 shown]
	v_fmac_f64_e32 v[66:67], v[28:29], v[68:69]
	s_mov_b32 s0, 0
	v_fma_f64 v[66:67], v[28:29], v[66:67], 1.0
	s_mov_b32 s1, 0x40900000
	v_fma_f64 v[28:29], v[28:29], v[66:67], 1.0
	v_cvt_i32_f64_e32 v16, v[16:17]
	v_cmp_nlt_f64_e32 vcc, s[0:1], v[10:11]
	s_mov_b32 s0, 0
	v_ldexp_f64 v[16:17], v[28:29], v16
	s_mov_b32 s1, 0xc090cc00
	v_add_f64 v[16:17], v[16:17], -1.0
	v_mov_b32_e32 v28, 0x7ff00000
	v_cmp_ngt_f64_e64 s[0:1], s[0:1], v[10:11]
	v_cndmask_b32_e32 v17, v28, v17, vcc
	v_mov_b32_e32 v28, 0xbff00000
	s_and_b64 vcc, s[0:1], vcc
	v_cndmask_b32_e64 v11, v28, v17, s[0:1]
	v_cndmask_b32_e32 v10, 0, v16, vcc
	v_mul_f64 v[10:11], v[42:43], v[10:11]
	v_div_scale_f64 v[16:17], s[0:1], v[2:3], v[2:3], v[10:11]
	v_rcp_f64_e32 v[28:29], v[16:17]
	v_fma_f64 v[42:43], -v[16:17], v[28:29], 1.0
	v_fmac_f64_e32 v[28:29], v[28:29], v[42:43]
	v_fma_f64 v[42:43], -v[16:17], v[28:29], 1.0
	v_fmac_f64_e32 v[28:29], v[28:29], v[42:43]
	v_div_scale_f64 v[42:43], vcc, v[10:11], v[2:3], v[10:11]
	v_mul_f64 v[66:67], v[42:43], v[28:29]
	v_fma_f64 v[16:17], -v[16:17], v[66:67], v[42:43]
	s_nop 1
	v_div_fmas_f64 v[16:17], v[16:17], v[28:29], v[66:67]
	v_div_fixup_f64 v[28:29], v[16:17], v[2:3], v[10:11]
.LBB0_81:
	s_or_b64 exec, exec, s[4:5]
	v_add_f64 v[2:3], -v[52:53], -v[64:65]
	v_add_f64 v[2:3], v[2:3], -v[36:37]
	v_add_f64 v[2:3], v[2:3], -v[54:55]
	;; [unrolled: 1-line block ×4, first 2 shown]
	v_fmac_f64_e32 v[2:3], 2.0, v[46:47]
	v_mul_f64 v[2:3], v[14:15], v[2:3]
	v_div_scale_f64 v[10:11], s[0:1], v[56:57], v[56:57], v[2:3]
	v_rcp_f64_e32 v[16:17], v[10:11]
	v_mul_f64 v[36:37], v[84:85], v[20:21]
	v_div_scale_f64 v[42:43], s[0:1], v[36:37], v[36:37], v[88:89]
	v_fma_f64 v[34:35], -v[10:11], v[16:17], 1.0
	v_fmac_f64_e32 v[16:17], v[16:17], v[34:35]
	v_fma_f64 v[34:35], -v[10:11], v[16:17], 1.0
	v_rcp_f64_e32 v[46:47], v[42:43]
	v_div_scale_f64 v[32:33], vcc, v[2:3], v[56:57], v[2:3]
	v_fmac_f64_e32 v[16:17], v[16:17], v[34:35]
	v_mul_f64 v[34:35], v[32:33], v[16:17]
	v_fma_f64 v[10:11], -v[10:11], v[34:35], v[32:33]
	s_nop 0
	v_div_fmas_f64 v[10:11], v[10:11], v[16:17], v[34:35]
	v_fma_f64 v[16:17], -v[42:43], v[46:47], 1.0
	v_fmac_f64_e32 v[46:47], v[46:47], v[16:17]
	v_fma_f64 v[16:17], -v[42:43], v[46:47], 1.0
	s_mov_b32 s0, 0x6acf4366
	v_fmac_f64_e32 v[46:47], v[46:47], v[16:17]
	v_div_scale_f64 v[16:17], vcc, v[88:89], v[36:37], v[88:89]
	s_mov_b32 s1, 0xbf440ed7
	v_mul_f64 v[32:33], v[16:17], v[46:47]
	v_fma_f64 v[34:35], v[112:113], s[0:1], -v[60:61]
	v_fma_f64 v[16:17], -v[42:43], v[32:33], v[16:17]
	v_div_scale_f64 v[42:43], s[0:1], v[6:7], v[6:7], v[34:35]
	v_rcp_f64_e32 v[52:53], v[42:43]
	v_div_fmas_f64 v[16:17], v[16:17], v[46:47], v[32:33]
	v_div_fixup_f64 v[16:17], v[16:17], v[36:37], v[88:89]
	v_mul_f64 v[18:19], v[18:19], v[50:51]
	v_fma_f64 v[32:33], -v[42:43], v[52:53], 1.0
	v_fmac_f64_e32 v[52:53], v[52:53], v[32:33]
	v_fma_f64 v[32:33], -v[42:43], v[52:53], 1.0
	v_fmac_f64_e32 v[52:53], v[52:53], v[32:33]
	v_div_scale_f64 v[32:33], vcc, v[34:35], v[6:7], v[34:35]
	v_mul_f64 v[36:37], v[32:33], v[52:53]
	v_fma_f64 v[32:33], -v[42:43], v[36:37], v[32:33]
	buffer_load_dword v42, off, s[56:59], 0 ; 4-byte Folded Reload
	buffer_load_dword v43, off, s[56:59], 0 offset:4 ; 4-byte Folded Reload
	v_div_fmas_f64 v[32:33], v[32:33], v[52:53], v[36:37]
	v_div_fixup_f64 v[6:7], v[32:33], v[6:7], v[34:35]
	v_add_f64 v[6:7], v[6:7], -v[62:63]
	v_fmac_f64_e32 v[30:31], v[6:7], v[22:23]
	v_fma_f64 v[26:27], v[38:39], v[30:31], -v[26:27]
	v_add_f64 v[4:5], v[4:5], v[28:29]
	v_div_fixup_f64 v[2:3], v[10:11], v[56:57], v[2:3]
	s_waitcnt vmcnt(0)
	v_mul_f64 v[20:21], v[42:43], v[20:21]
	v_div_scale_f64 v[42:43], s[0:1], v[20:21], v[20:21], v[88:89]
	v_rcp_f64_e32 v[46:47], v[42:43]
	v_fma_f64 v[32:33], -v[42:43], v[46:47], 1.0
	v_fmac_f64_e32 v[46:47], v[46:47], v[32:33]
	v_fma_f64 v[32:33], -v[42:43], v[46:47], 1.0
	v_fmac_f64_e32 v[46:47], v[46:47], v[32:33]
	v_div_scale_f64 v[32:33], vcc, v[88:89], v[20:21], v[88:89]
	v_mul_f64 v[34:35], v[32:33], v[46:47]
	v_fma_f64 v[32:33], -v[42:43], v[34:35], v[32:33]
	s_nop 1
	v_div_fmas_f64 v[32:33], v[32:33], v[46:47], v[34:35]
	v_div_fixup_f64 v[20:21], v[32:33], v[20:21], v[88:89]
	v_mul_f64 v[6:7], v[20:21], v[6:7]
	v_mul_f64 v[8:9], v[20:21], v[8:9]
	v_mul_f64 v[6:7], v[22:23], v[6:7]
	s_mov_b64 vcc, s[2:3]
	v_fmac_f64_e32 v[6:7], v[8:9], v[48:49]
	v_mul_f64 v[8:9], v[20:21], v[26:27]
	v_div_fmas_f64 v[30:31], v[58:59], v[40:41], v[44:45]
	v_fma_f64 v[6:7], v[38:39], -v[6:7], -v[8:9]
	v_div_fixup_f64 v[12:13], v[30:31], v[94:95], v[12:13]
	v_fmac_f64_e32 v[6:7], v[20:21], v[0:1]
	v_fmac_f64_e32 v[6:7], v[12:13], v[20:21]
	buffer_load_dword v12, off, s[56:59], 0 offset:128 ; 4-byte Folded Reload
	buffer_load_dword v13, off, s[56:59], 0 offset:132 ; 4-byte Folded Reload
	v_fmac_f64_e32 v[6:7], v[18:19], v[20:21]
	v_fmac_f64_e32 v[6:7], v[24:25], v[16:17]
	v_mul_f64 v[0:1], v[14:15], v[6:7]
	v_div_scale_f64 v[6:7], s[0:1], v[56:57], v[56:57], v[0:1]
	v_rcp_f64_e32 v[8:9], v[6:7]
	s_mov_b32 s0, 0xe2308c3a
	s_mov_b32 s1, 0x3e45798e
	s_waitcnt vmcnt(0)
	global_store_dwordx2 v[12:13], v[4:5], off
	v_fma_f64 v[4:5], -v[6:7], v[8:9], 1.0
	v_fmac_f64_e32 v[8:9], v[8:9], v[4:5]
	v_fma_f64 v[4:5], -v[6:7], v[8:9], 1.0
	v_fmac_f64_e32 v[8:9], v[8:9], v[4:5]
	v_div_scale_f64 v[4:5], vcc, v[0:1], v[56:57], v[0:1]
	v_mul_f64 v[10:11], v[4:5], v[8:9]
	v_fma_f64 v[4:5], -v[6:7], v[10:11], v[4:5]
	s_nop 1
	v_div_fmas_f64 v[4:5], v[4:5], v[8:9], v[10:11]
	v_div_fixup_f64 v[0:1], v[4:5], v[56:57], v[0:1]
	v_cmp_ngt_f64_e64 s[0:1], |v[0:1]|, s[0:1]
                                        ; implicit-def: $vgpr4_vgpr5
	s_and_saveexec_b64 s[2:3], s[0:1]
	s_xor_b64 s[0:1], exec, s[2:3]
; %bb.82:
	v_mul_f64 v[4:5], v[2:3], s[12:13]
                                        ; implicit-def: $vgpr0_vgpr1
                                        ; implicit-def: $vgpr2_vgpr3
; %bb.83:
	s_andn2_saveexec_b64 s[2:3], s[0:1]
	s_cbranch_execz .LBB0_85
; %bb.84:
	s_mov_b32 s0, 0x652b82fe
	v_mul_f64 v[4:5], v[0:1], s[12:13]
	s_mov_b32 s1, 0x3ff71547
	v_mul_f64 v[6:7], v[4:5], s[0:1]
	s_mov_b32 s0, 0xfefa39ef
	v_rndne_f64_e32 v[6:7], v[6:7]
	s_mov_b32 s1, 0xbfe62e42
	v_fma_f64 v[8:9], s[0:1], v[6:7], v[4:5]
	s_mov_b32 s0, 0x3b39803f
	s_mov_b32 s1, 0xbc7abc9e
	v_fmac_f64_e32 v[8:9], s[0:1], v[6:7]
	s_mov_b32 s0, 0x6a5dcb37
	v_mov_b32_e32 v10, 0xfca7ab0c
	v_mov_b32_e32 v11, 0x3e928af3
	s_mov_b32 s1, 0x3e5ade15
	v_fmac_f64_e32 v[10:11], s[0:1], v[8:9]
	v_mov_b32_e32 v12, 0x623fde64
	v_mov_b32_e32 v13, 0x3ec71dee
	v_fmac_f64_e32 v[12:13], v[8:9], v[10:11]
	v_mov_b32_e32 v10, 0x7c89e6b0
	v_mov_b32_e32 v11, 0x3efa0199
	;; [unrolled: 3-line block ×8, first 2 shown]
	v_fmac_f64_e32 v[10:11], v[8:9], v[12:13]
	s_mov_b32 s0, 0
	v_fma_f64 v[10:11], v[8:9], v[10:11], 1.0
	s_mov_b32 s1, 0x40900000
	v_fma_f64 v[8:9], v[8:9], v[10:11], 1.0
	v_cvt_i32_f64_e32 v6, v[6:7]
	v_cmp_nlt_f64_e32 vcc, s[0:1], v[4:5]
	s_mov_b32 s0, 0
	v_ldexp_f64 v[6:7], v[8:9], v6
	s_mov_b32 s1, 0xc090cc00
	v_add_f64 v[6:7], v[6:7], -1.0
	v_mov_b32_e32 v8, 0x7ff00000
	v_cmp_ngt_f64_e64 s[0:1], s[0:1], v[4:5]
	v_cndmask_b32_e32 v7, v8, v7, vcc
	v_mov_b32_e32 v8, 0xbff00000
	s_and_b64 vcc, s[0:1], vcc
	v_cndmask_b32_e64 v5, v8, v7, s[0:1]
	v_cndmask_b32_e32 v4, 0, v6, vcc
	v_mul_f64 v[2:3], v[2:3], v[4:5]
	v_div_scale_f64 v[4:5], s[0:1], v[0:1], v[0:1], v[2:3]
	v_rcp_f64_e32 v[6:7], v[4:5]
	v_fma_f64 v[8:9], -v[4:5], v[6:7], 1.0
	v_fmac_f64_e32 v[6:7], v[6:7], v[8:9]
	v_fma_f64 v[8:9], -v[4:5], v[6:7], 1.0
	v_fmac_f64_e32 v[6:7], v[6:7], v[8:9]
	v_div_scale_f64 v[8:9], vcc, v[2:3], v[0:1], v[2:3]
	v_mul_f64 v[10:11], v[8:9], v[6:7]
	v_fma_f64 v[4:5], -v[4:5], v[10:11], v[8:9]
	s_nop 1
	v_div_fmas_f64 v[4:5], v[4:5], v[6:7], v[10:11]
	v_div_fixup_f64 v[4:5], v[4:5], v[0:1], v[2:3]
.LBB0_85:
	s_or_b64 exec, exec, s[2:3]
	buffer_load_dword v0, off, s[56:59], 0  ; 4-byte Folded Reload
	buffer_load_dword v1, off, s[56:59], 0 offset:4 ; 4-byte Folded Reload
	buffer_load_dword v2, off, s[56:59], 0 offset:120 ; 4-byte Folded Reload
	;; [unrolled: 1-line block ×3, first 2 shown]
	s_waitcnt vmcnt(2)
	v_add_f64 v[0:1], v[0:1], v[4:5]
	s_waitcnt vmcnt(0)
	global_store_dwordx2 v[2:3], v[0:1], off
.LBB0_86:
	s_endpgm
	.section	.rodata,"a",@progbits
	.p2align	6, 0x0
	.amdhsa_kernel _Z21k_forward_rush_larsenPdddPKdi
		.amdhsa_group_segment_fixed_size 0
		.amdhsa_private_segment_fixed_size 468
		.amdhsa_kernarg_size 296
		.amdhsa_user_sgpr_count 6
		.amdhsa_user_sgpr_private_segment_buffer 1
		.amdhsa_user_sgpr_dispatch_ptr 0
		.amdhsa_user_sgpr_queue_ptr 0
		.amdhsa_user_sgpr_kernarg_segment_ptr 1
		.amdhsa_user_sgpr_dispatch_id 0
		.amdhsa_user_sgpr_flat_scratch_init 0
		.amdhsa_user_sgpr_kernarg_preload_length 0
		.amdhsa_user_sgpr_kernarg_preload_offset 0
		.amdhsa_user_sgpr_private_segment_size 0
		.amdhsa_uses_dynamic_stack 0
		.amdhsa_system_sgpr_private_segment_wavefront_offset 1
		.amdhsa_system_sgpr_workgroup_id_x 1
		.amdhsa_system_sgpr_workgroup_id_y 0
		.amdhsa_system_sgpr_workgroup_id_z 0
		.amdhsa_system_sgpr_workgroup_info 0
		.amdhsa_system_vgpr_workitem_id 0
		.amdhsa_next_free_vgpr 128
		.amdhsa_next_free_sgpr 60
		.amdhsa_accum_offset 128
		.amdhsa_reserve_vcc 1
		.amdhsa_reserve_flat_scratch 0
		.amdhsa_float_round_mode_32 0
		.amdhsa_float_round_mode_16_64 0
		.amdhsa_float_denorm_mode_32 3
		.amdhsa_float_denorm_mode_16_64 3
		.amdhsa_dx10_clamp 1
		.amdhsa_ieee_mode 1
		.amdhsa_fp16_overflow 0
		.amdhsa_tg_split 0
		.amdhsa_exception_fp_ieee_invalid_op 0
		.amdhsa_exception_fp_denorm_src 0
		.amdhsa_exception_fp_ieee_div_zero 0
		.amdhsa_exception_fp_ieee_overflow 0
		.amdhsa_exception_fp_ieee_underflow 0
		.amdhsa_exception_fp_ieee_inexact 0
		.amdhsa_exception_int_div_zero 0
	.end_amdhsa_kernel
	.text
.Lfunc_end0:
	.size	_Z21k_forward_rush_larsenPdddPKdi, .Lfunc_end0-_Z21k_forward_rush_larsenPdddPKdi
                                        ; -- End function
	.section	.AMDGPU.csdata,"",@progbits
; Kernel info:
; codeLenInByte = 50004
; NumSgprs: 64
; NumVgprs: 128
; NumAgprs: 0
; TotalNumVgprs: 128
; ScratchSize: 468
; MemoryBound: 0
; FloatMode: 240
; IeeeMode: 1
; LDSByteSize: 0 bytes/workgroup (compile time only)
; SGPRBlocks: 7
; VGPRBlocks: 15
; NumSGPRsForWavesPerEU: 64
; NumVGPRsForWavesPerEU: 128
; AccumOffset: 128
; Occupancy: 4
; WaveLimiterHint : 0
; COMPUTE_PGM_RSRC2:SCRATCH_EN: 1
; COMPUTE_PGM_RSRC2:USER_SGPR: 6
; COMPUTE_PGM_RSRC2:TRAP_HANDLER: 0
; COMPUTE_PGM_RSRC2:TGID_X_EN: 1
; COMPUTE_PGM_RSRC2:TGID_Y_EN: 0
; COMPUTE_PGM_RSRC2:TGID_Z_EN: 0
; COMPUTE_PGM_RSRC2:TIDIG_COMP_CNT: 0
; COMPUTE_PGM_RSRC3_GFX90A:ACCUM_OFFSET: 31
; COMPUTE_PGM_RSRC3_GFX90A:TG_SPLIT: 0
	.text
	.p2alignl 6, 3212836864
	.fill 256, 4, 3212836864
	.type	__hip_cuid_fc3472367aa7cdd6,@object ; @__hip_cuid_fc3472367aa7cdd6
	.section	.bss,"aw",@nobits
	.globl	__hip_cuid_fc3472367aa7cdd6
__hip_cuid_fc3472367aa7cdd6:
	.byte	0                               ; 0x0
	.size	__hip_cuid_fc3472367aa7cdd6, 1

	.ident	"AMD clang version 19.0.0git (https://github.com/RadeonOpenCompute/llvm-project roc-6.4.0 25133 c7fe45cf4b819c5991fe208aaa96edf142730f1d)"
	.section	".note.GNU-stack","",@progbits
	.addrsig
	.addrsig_sym __hip_cuid_fc3472367aa7cdd6
	.amdgpu_metadata
---
amdhsa.kernels:
  - .agpr_count:     0
    .args:
      - .address_space:  global
        .offset:         0
        .size:           8
        .value_kind:     global_buffer
      - .offset:         8
        .size:           8
        .value_kind:     by_value
      - .offset:         16
        .size:           8
        .value_kind:     by_value
      - .address_space:  global
        .offset:         24
        .size:           8
        .value_kind:     global_buffer
      - .offset:         32
        .size:           4
        .value_kind:     by_value
      - .offset:         40
        .size:           4
        .value_kind:     hidden_block_count_x
      - .offset:         44
        .size:           4
        .value_kind:     hidden_block_count_y
      - .offset:         48
        .size:           4
        .value_kind:     hidden_block_count_z
      - .offset:         52
        .size:           2
        .value_kind:     hidden_group_size_x
      - .offset:         54
        .size:           2
        .value_kind:     hidden_group_size_y
      - .offset:         56
        .size:           2
        .value_kind:     hidden_group_size_z
      - .offset:         58
        .size:           2
        .value_kind:     hidden_remainder_x
      - .offset:         60
        .size:           2
        .value_kind:     hidden_remainder_y
      - .offset:         62
        .size:           2
        .value_kind:     hidden_remainder_z
      - .offset:         80
        .size:           8
        .value_kind:     hidden_global_offset_x
      - .offset:         88
        .size:           8
        .value_kind:     hidden_global_offset_y
      - .offset:         96
        .size:           8
        .value_kind:     hidden_global_offset_z
      - .offset:         104
        .size:           2
        .value_kind:     hidden_grid_dims
    .group_segment_fixed_size: 0
    .kernarg_segment_align: 8
    .kernarg_segment_size: 296
    .language:       OpenCL C
    .language_version:
      - 2
      - 0
    .max_flat_workgroup_size: 1024
    .name:           _Z21k_forward_rush_larsenPdddPKdi
    .private_segment_fixed_size: 468
    .sgpr_count:     64
    .sgpr_spill_count: 0
    .symbol:         _Z21k_forward_rush_larsenPdddPKdi.kd
    .uniform_work_group_size: 1
    .uses_dynamic_stack: false
    .vgpr_count:     128
    .vgpr_spill_count: 138
    .wavefront_size: 64
amdhsa.target:   amdgcn-amd-amdhsa--gfx90a
amdhsa.version:
  - 1
  - 2
...

	.end_amdgpu_metadata
